;; amdgpu-corpus repo=ROCm/rocFFT kind=compiled arch=gfx1201 opt=O3
	.text
	.amdgcn_target "amdgcn-amd-amdhsa--gfx1201"
	.amdhsa_code_object_version 6
	.protected	bluestein_single_back_len273_dim1_dp_op_CI_CI ; -- Begin function bluestein_single_back_len273_dim1_dp_op_CI_CI
	.globl	bluestein_single_back_len273_dim1_dp_op_CI_CI
	.p2align	8
	.type	bluestein_single_back_len273_dim1_dp_op_CI_CI,@function
bluestein_single_back_len273_dim1_dp_op_CI_CI: ; @bluestein_single_back_len273_dim1_dp_op_CI_CI
; %bb.0:
	s_load_b128 s[12:15], s[0:1], 0x28
	v_mul_u32_u24_e32 v1, 0x13b2, v0
	v_mov_b32_e32 v7, 0
	s_mov_b32 s2, exec_lo
	s_delay_alu instid0(VALU_DEP_2) | instskip(NEXT) | instid1(VALU_DEP_1)
	v_lshrrev_b32_e32 v5, 16, v1
	v_lshl_add_u32 v6, ttmp9, 2, v5
	s_wait_kmcnt 0x0
	s_delay_alu instid0(VALU_DEP_1)
	v_cmpx_gt_u64_e64 s[12:13], v[6:7]
	s_cbranch_execz .LBB0_15
; %bb.1:
	s_clause 0x1
	s_load_b128 s[4:7], s[0:1], 0x18
	s_load_b64 s[12:13], s[0:1], 0x0
	v_mul_lo_u16 v1, v5, 13
	v_and_b32_e32 v5, 3, v5
	v_mov_b32_e32 v7, v6
	s_delay_alu instid0(VALU_DEP_3) | instskip(NEXT) | instid1(VALU_DEP_3)
	v_sub_nc_u16 v4, v0, v1
	v_mul_u32_u24_e32 v5, 0x111, v5
	scratch_store_b64 off, v[7:8], off offset:192 ; 8-byte Folded Spill
	v_and_b32_e32 v136, 0xffff, v4
	s_delay_alu instid0(VALU_DEP_1)
	v_lshlrev_b32_e32 v21, 4, v136
	s_wait_kmcnt 0x0
	s_load_b128 s[8:11], s[4:5], 0x0
	s_clause 0x9
	global_load_b128 v[116:119], v21, s[12:13]
	global_load_b128 v[124:127], v21, s[12:13] offset:336
	global_load_b128 v[112:115], v21, s[12:13] offset:672
	;; [unrolled: 1-line block ×9, first 2 shown]
	s_wait_kmcnt 0x0
	v_mad_co_u64_u32 v[0:1], null, s10, v6, 0
	v_mad_co_u64_u32 v[2:3], null, s8, v136, 0
	s_mul_u64 s[2:3], s[8:9], 21
	s_delay_alu instid0(VALU_DEP_1) | instskip(NEXT) | instid1(VALU_DEP_2)
	v_mad_co_u64_u32 v[6:7], null, s11, v6, v[1:2]
	v_mad_co_u64_u32 v[7:8], null, s9, v136, v[3:4]
	s_delay_alu instid0(VALU_DEP_2) | instskip(NEXT) | instid1(VALU_DEP_2)
	v_mov_b32_e32 v1, v6
	v_mov_b32_e32 v3, v7
	s_delay_alu instid0(VALU_DEP_2) | instskip(NEXT) | instid1(VALU_DEP_2)
	v_lshlrev_b64_e32 v[0:1], 4, v[0:1]
	v_lshlrev_b64_e32 v[6:7], 4, v[2:3]
	s_delay_alu instid0(VALU_DEP_2) | instskip(NEXT) | instid1(VALU_DEP_3)
	v_add_co_u32 v2, vcc_lo, s14, v0
	v_add_co_ci_u32_e32 v3, vcc_lo, s15, v1, vcc_lo
	s_lshl_b64 s[14:15], s[2:3], 4
	s_delay_alu instid0(VALU_DEP_2) | instskip(SKIP_1) | instid1(VALU_DEP_2)
	v_add_co_u32 v0, vcc_lo, v2, v6
	s_wait_alu 0xfffd
	v_add_co_ci_u32_e32 v1, vcc_lo, v3, v7, vcc_lo
	s_wait_alu 0xfffe
	s_delay_alu instid0(VALU_DEP_2) | instskip(SKIP_1) | instid1(VALU_DEP_2)
	v_add_co_u32 v10, vcc_lo, v0, s14
	s_wait_alu 0xfffd
	v_add_co_ci_u32_e32 v11, vcc_lo, s15, v1, vcc_lo
	s_delay_alu instid0(VALU_DEP_2) | instskip(SKIP_1) | instid1(VALU_DEP_2)
	v_add_co_u32 v14, vcc_lo, v10, s14
	s_wait_alu 0xfffd
	v_add_co_ci_u32_e32 v15, vcc_lo, s15, v11, vcc_lo
	s_clause 0x1
	global_load_b128 v[6:9], v[0:1], off
	global_load_b128 v[10:13], v[10:11], off
	v_add_co_u32 v18, vcc_lo, v14, s14
	s_wait_alu 0xfffd
	v_add_co_ci_u32_e32 v19, vcc_lo, s15, v15, vcc_lo
	s_clause 0x1
	global_load_b128 v[14:17], v[14:15], off
	global_load_b128 v[22:25], v[18:19], off
	v_add_co_u32 v0, vcc_lo, v18, s14
	s_wait_alu 0xfffd
	v_add_co_ci_u32_e32 v1, vcc_lo, s15, v19, vcc_lo
	s_delay_alu instid0(VALU_DEP_2) | instskip(SKIP_1) | instid1(VALU_DEP_2)
	v_add_co_u32 v18, vcc_lo, v0, s14
	s_wait_alu 0xfffd
	v_add_co_ci_u32_e32 v19, vcc_lo, s15, v1, vcc_lo
	global_load_b128 v[26:29], v[0:1], off
	v_add_co_u32 v0, vcc_lo, v18, s14
	s_wait_alu 0xfffd
	v_add_co_ci_u32_e32 v1, vcc_lo, s15, v19, vcc_lo
	global_load_b128 v[30:33], v[18:19], off
	;; [unrolled: 4-line block ×7, first 2 shown]
	v_add_co_u32 v0, vcc_lo, v18, s14
	s_wait_alu 0xfffd
	v_add_co_ci_u32_e32 v1, vcc_lo, s15, v19, vcc_lo
	s_clause 0x1
	global_load_b128 v[157:160], v21, s[12:13] offset:3360
	global_load_b128 v[153:156], v21, s[12:13] offset:3696
	global_load_b128 v[54:57], v[18:19], off
	global_load_b128 v[161:164], v21, s[12:13] offset:4032
	global_load_b128 v[58:61], v[0:1], off
	v_cmp_gt_u16_e32 vcc_lo, 8, v4
	v_or_b32_e32 v4, 0xa0, v136
	scratch_store_b32 off, v5, off offset:12 ; 4-byte Folded Spill
	s_wait_loadcnt 0x17
	s_clause 0x1
	scratch_store_b128 off, v[112:115], off offset:96
	scratch_store_b128 off, v[116:119], off offset:112
	s_wait_loadcnt 0x16
	s_clause 0x1
	scratch_store_b128 off, v[120:123], off offset:128
	scratch_store_b128 off, v[124:127], off offset:144
	s_wait_loadcnt 0x15
	scratch_store_b128 off, v[128:131], off offset:160 ; 16-byte Folded Spill
	s_wait_loadcnt 0x14
	scratch_store_b128 off, v[132:135], off offset:176 ; 16-byte Folded Spill
	;; [unrolled: 2-line block ×6, first 2 shown]
	s_wait_loadcnt 0xf
	v_mul_f64_e32 v[18:19], v[8:9], v[118:119]
	v_mul_f64_e32 v[62:63], v[6:7], v[118:119]
	s_wait_loadcnt 0xe
	v_mul_f64_e32 v[64:65], v[12:13], v[126:127]
	v_mul_f64_e32 v[66:67], v[10:11], v[126:127]
	;; [unrolled: 3-line block ×6, first 2 shown]
	v_lshlrev_b32_e32 v134, 4, v5
	s_wait_loadcnt 0x9
	v_mul_f64_e32 v[84:85], v[36:37], v[139:140]
	v_mul_f64_e32 v[86:87], v[34:35], v[139:140]
	s_delay_alu instid0(VALU_DEP_3)
	v_add_nc_u32_e32 v20, v134, v21
	s_wait_loadcnt 0x8
	v_mul_f64_e32 v[88:89], v[40:41], v[143:144]
	v_mul_f64_e32 v[90:91], v[38:39], v[143:144]
	s_wait_loadcnt 0x7
	v_mul_f64_e32 v[92:93], v[44:45], v[147:148]
	v_mul_f64_e32 v[94:95], v[42:43], v[147:148]
	v_fma_f64 v[6:7], v[6:7], v[116:117], v[18:19]
	v_fma_f64 v[8:9], v[8:9], v[116:117], -v[62:63]
	v_fma_f64 v[10:11], v[10:11], v[124:125], v[64:65]
	s_wait_loadcnt 0x6
	v_mul_f64_e32 v[96:97], v[48:49], v[151:152]
	v_mul_f64_e32 v[98:99], v[46:47], v[151:152]
	v_fma_f64 v[12:13], v[12:13], v[124:125], -v[66:67]
	v_fma_f64 v[14:15], v[14:15], v[112:113], v[68:69]
	v_fma_f64 v[16:17], v[16:17], v[112:113], -v[70:71]
	v_fma_f64 v[22:23], v[22:23], v[120:121], v[72:73]
	s_wait_loadcnt 0x4
	v_mul_f64_e32 v[100:101], v[52:53], v[159:160]
	s_wait_loadcnt 0x3
	scratch_store_b128 off, v[153:156], off offset:264 ; 16-byte Folded Spill
	v_mul_f64_e32 v[102:103], v[50:51], v[159:160]
	s_wait_loadcnt 0x2
	v_mul_f64_e32 v[104:105], v[56:57], v[155:156]
	v_mul_f64_e32 v[106:107], v[54:55], v[155:156]
	s_wait_loadcnt 0x0
	v_mul_f64_e32 v[108:109], v[60:61], v[163:164]
	v_mul_f64_e32 v[110:111], v[58:59], v[163:164]
	v_fma_f64 v[24:25], v[24:25], v[120:121], -v[74:75]
	v_fma_f64 v[26:27], v[26:27], v[128:129], v[76:77]
	v_fma_f64 v[28:29], v[28:29], v[128:129], -v[78:79]
	s_clause 0x1
	scratch_store_b128 off, v[157:160], off offset:280
	scratch_store_b128 off, v[161:164], off offset:296
	v_fma_f64 v[30:31], v[30:31], v[132:133], v[80:81]
	v_fma_f64 v[32:33], v[32:33], v[132:133], -v[82:83]
	s_load_b64 s[10:11], s[0:1], 0x38
	s_load_b128 s[4:7], s[6:7], 0x0
	v_add_co_u32 v18, s2, s12, v21
	v_fma_f64 v[34:35], v[34:35], v[137:138], v[84:85]
	v_fma_f64 v[36:37], v[36:37], v[137:138], -v[86:87]
	v_add_co_ci_u32_e64 v19, null, s13, 0, s2
	v_fma_f64 v[38:39], v[38:39], v[141:142], v[88:89]
	v_fma_f64 v[40:41], v[40:41], v[141:142], -v[90:91]
	scratch_store_b64 off, v[18:19], off offset:4 ; 8-byte Folded Spill
	ds_store_b128 v20, v[6:9]
	ds_store_b128 v20, v[10:13] offset:336
	ds_store_b128 v20, v[14:17] offset:672
	;; [unrolled: 1-line block ×7, first 2 shown]
	v_fma_f64 v[42:43], v[42:43], v[145:146], v[92:93]
	v_fma_f64 v[44:45], v[44:45], v[145:146], -v[94:95]
	v_fma_f64 v[46:47], v[46:47], v[149:150], v[96:97]
	v_fma_f64 v[48:49], v[48:49], v[149:150], -v[98:99]
	;; [unrolled: 2-line block ×5, first 2 shown]
	s_clause 0x1
	scratch_store_b32 off, v136, off
	scratch_store_b32 off, v4, off offset:500
	ds_store_b128 v20, v[42:45] offset:2688
	ds_store_b128 v20, v[46:49] offset:3024
	;; [unrolled: 1-line block ×5, first 2 shown]
	s_and_saveexec_b32 s3, vcc_lo
	s_cbranch_execz .LBB0_3
; %bb.2:
	s_clause 0x1
	scratch_load_b32 v4, off, off
	scratch_load_b64 v[98:99], off, off offset:4
	v_mad_co_u64_u32 v[0:1], null, 0xfffff110, s8, v[0:1]
	s_mul_i32 s2, s9, 0xfffff110
	s_wait_alu 0xfffe
	s_sub_co_i32 s2, s2, s8
	s_wait_loadcnt 0x1
	v_or_b32_e32 v5, 0xa0, v4
	s_delay_alu instid0(VALU_DEP_1) | instskip(SKIP_3) | instid1(VALU_DEP_3)
	v_mad_co_u64_u32 v[38:39], null, s8, v5, 0
	s_wait_alu 0xfffe
	v_add_nc_u32_e32 v1, s2, v1
	v_add_co_u32 v50, s2, v0, s14
	v_mov_b32_e32 v4, v39
	s_wait_alu 0xf1ff
	s_delay_alu instid0(VALU_DEP_3) | instskip(NEXT) | instid1(VALU_DEP_3)
	v_add_co_ci_u32_e64 v51, s2, s15, v1, s2
	v_add_co_u32 v52, s2, v50, s14
	s_delay_alu instid0(VALU_DEP_3) | instskip(SKIP_1) | instid1(VALU_DEP_3)
	v_mad_co_u64_u32 v[22:23], null, s9, v5, v[4:5]
	s_wait_alu 0xf1ff
	v_add_co_ci_u32_e64 v53, s2, s15, v51, s2
	s_delay_alu instid0(VALU_DEP_3)
	v_add_co_u32 v54, s2, v52, s14
	s_wait_loadcnt 0x0
	s_clause 0x1
	global_load_b128 v[4:7], v[98:99], off offset:208
	global_load_b128 v[8:11], v[98:99], off offset:544
	s_wait_alu 0xf1ff
	v_add_co_ci_u32_e64 v55, s2, s15, v53, s2
	v_add_co_u32 v58, s2, v54, s14
	s_clause 0x1
	global_load_b128 v[12:15], v[98:99], off offset:880
	global_load_b128 v[16:19], v[98:99], off offset:1216
	s_wait_alu 0xf1ff
	v_add_co_ci_u32_e64 v59, s2, s15, v55, s2
	v_add_co_u32 v66, s2, v58, s14
	s_wait_alu 0xf1ff
	s_delay_alu instid0(VALU_DEP_2) | instskip(NEXT) | instid1(VALU_DEP_2)
	v_add_co_ci_u32_e64 v67, s2, s15, v59, s2
	v_add_co_u32 v70, s2, v66, s14
	s_wait_alu 0xf1ff
	s_delay_alu instid0(VALU_DEP_2) | instskip(NEXT) | instid1(VALU_DEP_1)
	v_add_co_ci_u32_e64 v71, s2, s15, v67, s2
	v_mad_co_u64_u32 v[74:75], null, 0x2a0, s8, v[70:71]
	v_mov_b32_e32 v39, v22
	s_clause 0x3
	global_load_b128 v[22:25], v[98:99], off offset:1552
	global_load_b128 v[26:29], v[98:99], off offset:1888
	global_load_b128 v[30:33], v[98:99], off offset:2224
	global_load_b128 v[34:37], v[98:99], off offset:2560
	v_mov_b32_e32 v60, v75
	v_lshlrev_b64_e32 v[56:57], 4, v[38:39]
	s_clause 0x1
	global_load_b128 v[38:41], v[98:99], off offset:2896
	global_load_b128 v[42:45], v[98:99], off offset:3232
	global_load_b128 v[46:49], v[0:1], off
	v_mad_co_u64_u32 v[72:73], null, 0x2a0, s9, v[60:61]
	v_add_co_u32 v62, s2, v2, v56
	s_wait_alu 0xf1ff
	v_add_co_ci_u32_e64 v63, s2, v3, v57, s2
	v_add_co_u32 v78, s2, v74, s14
	s_delay_alu instid0(VALU_DEP_4)
	v_mov_b32_e32 v75, v72
	global_load_b128 v[0:3], v[50:51], off
	global_load_b128 v[50:53], v[52:53], off
	;; [unrolled: 1-line block ×7, first 2 shown]
	s_wait_alu 0xf1ff
	v_add_co_ci_u32_e64 v79, s2, s15, v75, s2
	v_add_co_u32 v82, s2, v78, s14
	global_load_b128 v[74:77], v[74:75], off
	s_wait_alu 0xf1ff
	v_add_co_ci_u32_e64 v83, s2, s15, v79, s2
	v_add_co_u32 v94, s2, v82, s14
	global_load_b128 v[78:81], v[78:79], off
	;; [unrolled: 4-line block ×3, first 2 shown]
	s_wait_alu 0xf1ff
	v_add_co_ci_u32_e64 v103, s2, s15, v95, s2
	s_clause 0x1
	global_load_b128 v[86:89], v[98:99], off offset:3568
	global_load_b128 v[90:93], v[98:99], off offset:3904
	global_load_b128 v[94:97], v[94:95], off
	global_load_b128 v[98:101], v[98:99], off offset:4240
	global_load_b128 v[102:105], v[102:103], off
	s_wait_loadcnt 0xf
	v_mul_f64_e32 v[106:107], v[48:49], v[6:7]
	v_mul_f64_e32 v[6:7], v[46:47], v[6:7]
	s_wait_loadcnt 0xe
	v_mul_f64_e32 v[108:109], v[2:3], v[10:11]
	v_mul_f64_e32 v[10:11], v[0:1], v[10:11]
	;; [unrolled: 3-line block ×7, first 2 shown]
	v_mul_f64_e32 v[116:117], v[64:65], v[36:37]
	v_mul_f64_e32 v[36:37], v[62:63], v[36:37]
	s_wait_loadcnt 0x7
	v_mul_f64_e32 v[122:123], v[76:77], v[40:41]
	v_mul_f64_e32 v[40:41], v[74:75], v[40:41]
	s_wait_loadcnt 0x6
	;; [unrolled: 3-line block ×5, first 2 shown]
	v_mul_f64_e32 v[132:133], v[104:105], v[100:101]
	v_mul_f64_e32 v[100:101], v[102:103], v[100:101]
	v_fma_f64 v[44:45], v[46:47], v[4:5], v[106:107]
	v_fma_f64 v[46:47], v[48:49], v[4:5], -v[6:7]
	v_fma_f64 v[0:1], v[0:1], v[8:9], v[108:109]
	v_fma_f64 v[2:3], v[2:3], v[8:9], -v[10:11]
	;; [unrolled: 2-line block ×13, first 2 shown]
	ds_store_b128 v20, v[44:47] offset:208
	ds_store_b128 v20, v[0:3] offset:544
	;; [unrolled: 1-line block ×13, first 2 shown]
.LBB0_3:
	s_wait_alu 0xfffe
	s_or_b32 exec_lo, exec_lo, s3
	scratch_store_b32 off, v134, off offset:312 ; 4-byte Folded Spill
	global_wb scope:SCOPE_SE
	s_wait_storecnt_dscnt 0x0
	s_wait_kmcnt 0x0
	s_barrier_signal -1
	s_barrier_wait -1
	global_inv scope:SCOPE_SE
	ds_load_b128 v[52:55], v20
	ds_load_b128 v[60:63], v20 offset:336
	ds_load_b128 v[0:3], v20 offset:672
	;; [unrolled: 1-line block ×12, first 2 shown]
	s_load_b64 s[0:1], s[0:1], 0x8
                                        ; implicit-def: $vgpr72_vgpr73
                                        ; implicit-def: $vgpr96_vgpr97
                                        ; implicit-def: $vgpr104_vgpr105
                                        ; implicit-def: $vgpr108_vgpr109
                                        ; implicit-def: $vgpr120_vgpr121
                                        ; implicit-def: $vgpr116_vgpr117
                                        ; implicit-def: $vgpr112_vgpr113
                                        ; implicit-def: $vgpr100_vgpr101
                                        ; implicit-def: $vgpr92_vgpr93
                                        ; implicit-def: $vgpr88_vgpr89
                                        ; implicit-def: $vgpr84_vgpr85
                                        ; implicit-def: $vgpr80_vgpr81
                                        ; implicit-def: $vgpr76_vgpr77
	s_and_saveexec_b32 s2, vcc_lo
	s_cbranch_execz .LBB0_5
; %bb.4:
	ds_load_b128 v[72:75], v20 offset:208
	ds_load_b128 v[96:99], v20 offset:544
	ds_load_b128 v[104:107], v20 offset:880
	ds_load_b128 v[108:111], v20 offset:1216
	ds_load_b128 v[120:123], v20 offset:1552
	ds_load_b128 v[116:119], v20 offset:1888
	ds_load_b128 v[112:115], v20 offset:2224
	ds_load_b128 v[100:103], v20 offset:2560
	ds_load_b128 v[92:95], v20 offset:2896
	ds_load_b128 v[88:91], v20 offset:3232
	ds_load_b128 v[84:87], v20 offset:3568
	ds_load_b128 v[80:83], v20 offset:3904
	ds_load_b128 v[76:79], v20 offset:4240
.LBB0_5:
	s_wait_alu 0xfffe
	s_or_b32 exec_lo, exec_lo, s2
	s_wait_dscnt 0xb
	v_add_f64_e32 v[22:23], v[52:53], v[60:61]
	v_add_f64_e32 v[24:25], v[54:55], v[62:63]
	s_wait_dscnt 0x4
	v_add_f64_e32 v[142:143], v[124:125], v[68:69]
	v_add_f64_e64 v[144:145], v[124:125], -v[68:69]
	s_wait_dscnt 0x3
	v_add_f64_e64 v[148:149], v[16:17], -v[12:13]
	v_add_f64_e32 v[140:141], v[126:127], v[70:71]
	v_add_f64_e64 v[146:147], v[126:127], -v[70:71]
	v_add_f64_e64 v[150:151], v[18:19], -v[14:15]
	s_wait_dscnt 0x2
	v_add_f64_e32 v[152:153], v[8:9], v[4:5]
	v_add_f64_e64 v[156:157], v[8:9], -v[4:5]
	v_add_f64_e32 v[154:155], v[10:11], v[6:7]
	v_add_f64_e64 v[158:159], v[10:11], -v[6:7]
	s_wait_dscnt 0x1
	v_add_f64_e32 v[160:161], v[0:1], v[64:65]
	v_add_f64_e64 v[164:165], v[0:1], -v[64:65]
	s_mov_b32 s30, 0x4267c47c
	s_mov_b32 s28, 0x42a4c3d2
	s_mov_b32 s26, 0x66966769
	s_mov_b32 s22, 0x2ef20147
	s_mov_b32 s24, 0x24c2f84
	s_mov_b32 s34, 0x4bc48dbf
	s_mov_b32 s31, 0xbfddbe06
	s_mov_b32 s29, 0xbfea55e2
	s_mov_b32 s27, 0xbfefc445
	s_mov_b32 s23, 0xbfedeba7
	s_mov_b32 s25, 0xbfe5384d
	s_mov_b32 s35, 0xbfcea1e5
	v_add_f64_e32 v[162:163], v[2:3], v[66:67]
	s_mov_b32 s20, 0xe00740e9
	s_mov_b32 s18, 0x1ea71119
	;; [unrolled: 1-line block ×11, first 2 shown]
	v_add_f64_e32 v[22:23], v[22:23], v[0:1]
	v_add_f64_e32 v[24:25], v[24:25], v[2:3]
	s_mov_b32 s3, 0xbfef11f4
	v_add_f64_e32 v[136:137], v[132:133], v[128:129]
	v_add_f64_e32 v[138:139], v[134:135], v[130:131]
	s_mov_b32 s41, 0x3fe5384d
	s_mov_b32 s40, s24
	;; [unrolled: 1-line block ×12, first 2 shown]
	s_wait_dscnt 0x0
	v_add_f64_e64 v[190:191], v[98:99], -v[78:79]
	v_add_f64_e64 v[176:177], v[106:107], -v[82:83]
	v_add_f64_e32 v[186:187], v[96:97], v[76:77]
	v_add_f64_e64 v[172:173], v[104:105], -v[80:81]
	v_add_f64_e64 v[238:239], v[96:97], -v[76:77]
	v_add_f64_e32 v[196:197], v[98:99], v[78:79]
	v_add_f64_e64 v[180:181], v[110:111], -v[86:87]
	v_add_f64_e64 v[174:175], v[108:109], -v[84:85]
	;; [unrolled: 1-line block ×8, first 2 shown]
	v_add_f64_e32 v[168:169], v[114:115], v[102:103]
	v_add_f64_e32 v[22:23], v[22:23], v[8:9]
	;; [unrolled: 1-line block ×3, first 2 shown]
	v_add_f64_e64 v[10:11], v[60:61], -v[56:57]
	v_add_f64_e32 v[8:9], v[62:63], v[58:59]
	v_mul_f64_e32 v[234:235], s[40:41], v[176:177]
	v_mul_f64_e32 v[248:249], s[36:37], v[176:177]
	;; [unrolled: 1-line block ×16, first 2 shown]
	v_add_f64_e32 v[22:23], v[22:23], v[16:17]
	v_add_f64_e32 v[24:25], v[24:25], v[18:19]
	v_mul_f64_e32 v[38:39], s[28:29], v[10:11]
	v_mul_f64_e32 v[40:41], s[26:27], v[10:11]
	;; [unrolled: 1-line block ×4, first 2 shown]
	v_add_f64_e32 v[22:23], v[22:23], v[124:125]
	v_add_f64_e32 v[24:25], v[24:25], v[126:127]
	v_fma_f64 v[48:49], v[8:9], s[18:19], v[38:39]
	v_fma_f64 v[50:51], v[8:9], s[16:17], v[40:41]
	v_fma_f64 v[38:39], v[8:9], s[18:19], -v[38:39]
	v_fma_f64 v[40:41], v[8:9], s[16:17], -v[40:41]
	v_add_f64_e32 v[22:23], v[22:23], v[132:133]
	v_add_f64_e32 v[24:25], v[24:25], v[134:135]
	v_add_f64_e64 v[132:133], v[132:133], -v[128:129]
	v_add_f64_e64 v[134:135], v[134:135], -v[130:131]
	v_add_f64_e32 v[38:39], v[54:55], v[38:39]
	v_add_f64_e32 v[40:41], v[54:55], v[40:41]
	;; [unrolled: 1-line block ×4, first 2 shown]
	s_delay_alu instid0(VALU_DEP_2) | instskip(NEXT) | instid1(VALU_DEP_2)
	v_add_f64_e32 v[22:23], v[22:23], v[68:69]
	v_add_f64_e32 v[24:25], v[24:25], v[70:71]
	;; [unrolled: 1-line block ×4, first 2 shown]
	s_delay_alu instid0(VALU_DEP_4) | instskip(NEXT) | instid1(VALU_DEP_4)
	v_add_f64_e32 v[12:13], v[22:23], v[12:13]
	v_add_f64_e32 v[14:15], v[24:25], v[14:15]
	v_add_f64_e64 v[22:23], v[2:3], -v[66:67]
	s_delay_alu instid0(VALU_DEP_3) | instskip(NEXT) | instid1(VALU_DEP_3)
	v_add_f64_e32 v[4:5], v[12:13], v[4:5]
	v_add_f64_e32 v[6:7], v[14:15], v[6:7]
	s_delay_alu instid0(VALU_DEP_2) | instskip(SKIP_1) | instid1(VALU_DEP_3)
	v_add_f64_e32 v[0:1], v[4:5], v[64:65]
	v_add_f64_e64 v[4:5], v[62:63], -v[58:59]
	v_add_f64_e32 v[2:3], v[6:7], v[66:67]
	v_add_f64_e32 v[6:7], v[60:61], v[56:57]
	s_delay_alu instid0(VALU_DEP_4) | instskip(NEXT) | instid1(VALU_DEP_4)
	v_add_f64_e32 v[0:1], v[0:1], v[56:57]
	v_mul_f64_e32 v[12:13], s[30:31], v[4:5]
	v_mul_f64_e32 v[14:15], s[28:29], v[4:5]
	;; [unrolled: 1-line block ×6, first 2 shown]
	v_add_f64_e32 v[2:3], v[2:3], v[58:59]
	s_wait_alu 0xfffe
	v_fma_f64 v[56:57], v[8:9], s[14:15], v[42:43]
	v_fma_f64 v[42:43], v[8:9], s[14:15], -v[42:43]
	v_fma_f64 v[58:59], v[8:9], s[8:9], v[44:45]
	v_fma_f64 v[44:45], v[8:9], s[8:9], -v[44:45]
	v_fma_f64 v[26:27], v[6:7], s[20:21], -v[12:13]
	v_fma_f64 v[12:13], v[6:7], s[20:21], v[12:13]
	v_fma_f64 v[28:29], v[6:7], s[18:19], -v[14:15]
	v_fma_f64 v[14:15], v[6:7], s[18:19], v[14:15]
	;; [unrolled: 2-line block ×6, first 2 shown]
	v_mul_f64_e32 v[6:7], s[30:31], v[10:11]
	v_mul_f64_e32 v[10:11], s[34:35], v[10:11]
	v_add_f64_e32 v[56:57], v[54:55], v[56:57]
	v_add_f64_e32 v[42:43], v[54:55], v[42:43]
	;; [unrolled: 1-line block ×13, first 2 shown]
	v_mul_f64_e32 v[18:19], s[26:27], v[158:159]
	v_fma_f64 v[46:47], v[8:9], s[20:21], v[6:7]
	v_fma_f64 v[6:7], v[8:9], s[20:21], -v[6:7]
	v_fma_f64 v[60:61], v[8:9], s[2:3], v[10:11]
	v_fma_f64 v[8:9], v[8:9], s[2:3], -v[10:11]
	v_add_f64_e32 v[10:11], v[52:53], v[26:27]
	v_add_f64_e32 v[26:27], v[54:55], v[46:47]
	;; [unrolled: 1-line block ×6, first 2 shown]
	v_mul_f64_e32 v[4:5], s[28:29], v[22:23]
	v_add_f64_e32 v[6:7], v[54:55], v[6:7]
	v_add_f64_e32 v[60:61], v[54:55], v[60:61]
	;; [unrolled: 1-line block ×3, first 2 shown]
	v_mul_f64_e32 v[16:17], s[28:29], v[164:165]
	v_fma_f64 v[8:9], v[160:161], s[18:19], -v[4:5]
	v_fma_f64 v[4:5], v[160:161], s[18:19], v[4:5]
	s_delay_alu instid0(VALU_DEP_2) | instskip(NEXT) | instid1(VALU_DEP_4)
	v_add_f64_e32 v[8:9], v[8:9], v[10:11]
	v_fma_f64 v[10:11], v[162:163], s[18:19], v[16:17]
	s_delay_alu instid0(VALU_DEP_3) | instskip(SKIP_1) | instid1(VALU_DEP_3)
	v_add_f64_e32 v[4:5], v[4:5], v[12:13]
	v_fma_f64 v[12:13], v[162:163], s[18:19], -v[16:17]
	v_add_f64_e32 v[10:11], v[10:11], v[26:27]
	v_fma_f64 v[26:27], v[152:153], s[16:17], -v[18:19]
	s_delay_alu instid0(VALU_DEP_3) | instskip(SKIP_1) | instid1(VALU_DEP_3)
	v_add_f64_e32 v[6:7], v[12:13], v[6:7]
	v_fma_f64 v[12:13], v[152:153], s[16:17], v[18:19]
	v_add_f64_e32 v[8:9], v[26:27], v[8:9]
	v_mul_f64_e32 v[26:27], s[26:27], v[156:157]
	s_delay_alu instid0(VALU_DEP_3) | instskip(NEXT) | instid1(VALU_DEP_2)
	v_add_f64_e32 v[4:5], v[12:13], v[4:5]
	v_fma_f64 v[64:65], v[154:155], s[16:17], v[26:27]
	v_fma_f64 v[12:13], v[154:155], s[16:17], -v[26:27]
	v_mul_f64_e32 v[26:27], s[22:23], v[164:165]
	s_delay_alu instid0(VALU_DEP_3) | instskip(SKIP_1) | instid1(VALU_DEP_4)
	v_add_f64_e32 v[10:11], v[64:65], v[10:11]
	v_mul_f64_e32 v[64:65], s[22:23], v[150:151]
	v_add_f64_e32 v[6:7], v[12:13], v[6:7]
	s_delay_alu instid0(VALU_DEP_4) | instskip(NEXT) | instid1(VALU_DEP_3)
	v_fma_f64 v[18:19], v[162:163], s[14:15], v[26:27]
	v_fma_f64 v[66:67], v[68:69], s[14:15], -v[64:65]
	v_fma_f64 v[12:13], v[68:69], s[14:15], v[64:65]
	s_delay_alu instid0(VALU_DEP_3) | instskip(NEXT) | instid1(VALU_DEP_3)
	v_add_f64_e32 v[18:19], v[18:19], v[46:47]
	v_add_f64_e32 v[8:9], v[66:67], v[8:9]
	v_mul_f64_e32 v[66:67], s[22:23], v[148:149]
	s_delay_alu instid0(VALU_DEP_4) | instskip(NEXT) | instid1(VALU_DEP_2)
	v_add_f64_e32 v[4:5], v[12:13], v[4:5]
	v_fma_f64 v[124:125], v[70:71], s[14:15], v[66:67]
	v_fma_f64 v[12:13], v[70:71], s[14:15], -v[66:67]
	s_delay_alu instid0(VALU_DEP_2) | instskip(SKIP_1) | instid1(VALU_DEP_3)
	v_add_f64_e32 v[10:11], v[124:125], v[10:11]
	v_mul_f64_e32 v[124:125], s[24:25], v[146:147]
	v_add_f64_e32 v[6:7], v[12:13], v[6:7]
	s_delay_alu instid0(VALU_DEP_2) | instskip(SKIP_1) | instid1(VALU_DEP_2)
	v_fma_f64 v[126:127], v[142:143], s[8:9], -v[124:125]
	v_fma_f64 v[12:13], v[142:143], s[8:9], v[124:125]
	v_add_f64_e32 v[8:9], v[126:127], v[8:9]
	v_mul_f64_e32 v[126:127], s[24:25], v[144:145]
	s_delay_alu instid0(VALU_DEP_3) | instskip(NEXT) | instid1(VALU_DEP_2)
	v_add_f64_e32 v[4:5], v[12:13], v[4:5]
	v_fma_f64 v[128:129], v[140:141], s[8:9], v[126:127]
	v_fma_f64 v[12:13], v[140:141], s[8:9], -v[126:127]
	s_delay_alu instid0(VALU_DEP_2) | instskip(SKIP_1) | instid1(VALU_DEP_3)
	v_add_f64_e32 v[10:11], v[128:129], v[10:11]
	v_mul_f64_e32 v[128:129], s[34:35], v[134:135]
	v_add_f64_e32 v[6:7], v[12:13], v[6:7]
	s_delay_alu instid0(VALU_DEP_2) | instskip(SKIP_1) | instid1(VALU_DEP_2)
	v_fma_f64 v[130:131], v[136:137], s[2:3], -v[128:129]
	v_fma_f64 v[12:13], v[136:137], s[2:3], v[128:129]
	v_add_f64_e32 v[8:9], v[130:131], v[8:9]
	v_mul_f64_e32 v[130:131], s[34:35], v[132:133]
	s_delay_alu instid0(VALU_DEP_3) | instskip(SKIP_1) | instid1(VALU_DEP_3)
	v_add_f64_e32 v[4:5], v[12:13], v[4:5]
	v_mul_f64_e32 v[12:13], s[22:23], v[22:23]
	v_fma_f64 v[16:17], v[138:139], s[2:3], -v[130:131]
	v_fma_f64 v[166:167], v[138:139], s[2:3], v[130:131]
	s_delay_alu instid0(VALU_DEP_2) | instskip(NEXT) | instid1(VALU_DEP_4)
	v_add_f64_e32 v[6:7], v[16:17], v[6:7]
	v_fma_f64 v[16:17], v[160:161], s[14:15], -v[12:13]
	v_fma_f64 v[12:13], v[160:161], s[14:15], v[12:13]
	s_delay_alu instid0(VALU_DEP_4) | instskip(NEXT) | instid1(VALU_DEP_3)
	v_add_f64_e32 v[10:11], v[166:167], v[10:11]
	v_add_f64_e32 v[16:17], v[16:17], v[28:29]
	v_mul_f64_e32 v[28:29], s[34:35], v[158:159]
	s_delay_alu instid0(VALU_DEP_4) | instskip(SKIP_1) | instid1(VALU_DEP_3)
	v_add_f64_e32 v[12:13], v[12:13], v[14:15]
	v_fma_f64 v[14:15], v[162:163], s[14:15], -v[26:27]
	v_fma_f64 v[46:47], v[152:153], s[2:3], -v[28:29]
	v_fma_f64 v[26:27], v[152:153], s[2:3], v[28:29]
	s_delay_alu instid0(VALU_DEP_3) | instskip(NEXT) | instid1(VALU_DEP_3)
	v_add_f64_e32 v[14:15], v[14:15], v[38:39]
	v_add_f64_e32 v[16:17], v[46:47], v[16:17]
	v_mul_f64_e32 v[46:47], s[34:35], v[156:157]
	s_delay_alu instid0(VALU_DEP_4) | instskip(NEXT) | instid1(VALU_DEP_2)
	v_add_f64_e32 v[12:13], v[26:27], v[12:13]
	v_fma_f64 v[64:65], v[154:155], s[2:3], v[46:47]
	v_fma_f64 v[26:27], v[154:155], s[2:3], -v[46:47]
	v_mul_f64_e32 v[46:47], s[42:43], v[158:159]
	s_delay_alu instid0(VALU_DEP_3) | instskip(SKIP_1) | instid1(VALU_DEP_4)
	v_add_f64_e32 v[18:19], v[64:65], v[18:19]
	v_mul_f64_e32 v[64:65], s[40:41], v[150:151]
	v_add_f64_e32 v[14:15], v[26:27], v[14:15]
	s_delay_alu instid0(VALU_DEP_2) | instskip(SKIP_1) | instid1(VALU_DEP_2)
	v_fma_f64 v[66:67], v[68:69], s[8:9], -v[64:65]
	v_fma_f64 v[26:27], v[68:69], s[8:9], v[64:65]
	v_add_f64_e32 v[16:17], v[66:67], v[16:17]
	v_mul_f64_e32 v[66:67], s[40:41], v[148:149]
	s_delay_alu instid0(VALU_DEP_3) | instskip(NEXT) | instid1(VALU_DEP_2)
	v_add_f64_e32 v[12:13], v[26:27], v[12:13]
	v_fma_f64 v[124:125], v[70:71], s[8:9], v[66:67]
	v_fma_f64 v[26:27], v[70:71], s[8:9], -v[66:67]
	s_delay_alu instid0(VALU_DEP_2) | instskip(SKIP_1) | instid1(VALU_DEP_3)
	v_add_f64_e32 v[18:19], v[124:125], v[18:19]
	v_mul_f64_e32 v[124:125], s[36:37], v[146:147]
	v_add_f64_e32 v[14:15], v[26:27], v[14:15]
	s_delay_alu instid0(VALU_DEP_2) | instskip(SKIP_1) | instid1(VALU_DEP_2)
	v_fma_f64 v[126:127], v[142:143], s[16:17], -v[124:125]
	v_fma_f64 v[26:27], v[142:143], s[16:17], v[124:125]
	v_add_f64_e32 v[16:17], v[126:127], v[16:17]
	v_mul_f64_e32 v[126:127], s[36:37], v[144:145]
	s_delay_alu instid0(VALU_DEP_3) | instskip(NEXT) | instid1(VALU_DEP_2)
	v_add_f64_e32 v[12:13], v[26:27], v[12:13]
	v_fma_f64 v[128:129], v[140:141], s[16:17], v[126:127]
	v_fma_f64 v[26:27], v[140:141], s[16:17], -v[126:127]
	s_delay_alu instid0(VALU_DEP_2) | instskip(SKIP_1) | instid1(VALU_DEP_3)
	v_add_f64_e32 v[18:19], v[128:129], v[18:19]
	v_mul_f64_e32 v[128:129], s[38:39], v[134:135]
	v_add_f64_e32 v[14:15], v[26:27], v[14:15]
	s_delay_alu instid0(VALU_DEP_2) | instskip(SKIP_1) | instid1(VALU_DEP_2)
	v_fma_f64 v[130:131], v[136:137], s[20:21], -v[128:129]
	v_fma_f64 v[26:27], v[136:137], s[20:21], v[128:129]
	v_add_f64_e32 v[16:17], v[130:131], v[16:17]
	v_mul_f64_e32 v[130:131], s[38:39], v[132:133]
	s_delay_alu instid0(VALU_DEP_3) | instskip(SKIP_1) | instid1(VALU_DEP_3)
	v_add_f64_e32 v[12:13], v[26:27], v[12:13]
	v_mul_f64_e32 v[26:27], s[34:35], v[22:23]
	v_fma_f64 v[28:29], v[138:139], s[20:21], -v[130:131]
	v_fma_f64 v[166:167], v[138:139], s[20:21], v[130:131]
	s_delay_alu instid0(VALU_DEP_2) | instskip(NEXT) | instid1(VALU_DEP_4)
	v_add_f64_e32 v[14:15], v[28:29], v[14:15]
	v_fma_f64 v[28:29], v[160:161], s[2:3], -v[26:27]
	s_delay_alu instid0(VALU_DEP_3) | instskip(SKIP_2) | instid1(VALU_DEP_4)
	v_add_f64_e32 v[18:19], v[166:167], v[18:19]
	v_mul_f64_e32 v[166:167], s[24:25], v[134:135]
	v_fma_f64 v[26:27], v[160:161], s[2:3], v[26:27]
	v_add_f64_e32 v[28:29], v[28:29], v[30:31]
	v_mul_f64_e32 v[30:31], s[34:35], v[164:165]
	s_delay_alu instid0(VALU_DEP_3) | instskip(NEXT) | instid1(VALU_DEP_2)
	v_add_f64_e32 v[26:27], v[26:27], v[50:51]
	v_fma_f64 v[38:39], v[162:163], s[2:3], v[30:31]
	v_fma_f64 v[30:31], v[162:163], s[2:3], -v[30:31]
	s_delay_alu instid0(VALU_DEP_2) | instskip(SKIP_1) | instid1(VALU_DEP_3)
	v_add_f64_e32 v[38:39], v[38:39], v[48:49]
	v_fma_f64 v[48:49], v[152:153], s[14:15], -v[46:47]
	v_add_f64_e32 v[30:31], v[30:31], v[40:41]
	s_delay_alu instid0(VALU_DEP_2) | instskip(SKIP_1) | instid1(VALU_DEP_1)
	v_add_f64_e32 v[28:29], v[48:49], v[28:29]
	v_mul_f64_e32 v[48:49], s[42:43], v[156:157]
	v_fma_f64 v[64:65], v[154:155], s[14:15], v[48:49]
	s_delay_alu instid0(VALU_DEP_1) | instskip(SKIP_1) | instid1(VALU_DEP_1)
	v_add_f64_e32 v[38:39], v[64:65], v[38:39]
	v_mul_f64_e32 v[64:65], s[38:39], v[150:151]
	v_fma_f64 v[66:67], v[68:69], s[20:21], -v[64:65]
	s_delay_alu instid0(VALU_DEP_1) | instskip(SKIP_1) | instid1(VALU_DEP_1)
	v_add_f64_e32 v[28:29], v[66:67], v[28:29]
	v_mul_f64_e32 v[66:67], s[38:39], v[148:149]
	v_fma_f64 v[124:125], v[70:71], s[20:21], v[66:67]
	s_delay_alu instid0(VALU_DEP_1) | instskip(SKIP_1) | instid1(VALU_DEP_1)
	v_add_f64_e32 v[38:39], v[124:125], v[38:39]
	v_mul_f64_e32 v[124:125], s[28:29], v[146:147]
	v_fma_f64 v[126:127], v[142:143], s[18:19], -v[124:125]
	s_delay_alu instid0(VALU_DEP_1) | instskip(SKIP_1) | instid1(VALU_DEP_1)
	v_add_f64_e32 v[28:29], v[126:127], v[28:29]
	v_mul_f64_e32 v[126:127], s[28:29], v[144:145]
	v_fma_f64 v[128:129], v[140:141], s[18:19], v[126:127]
	s_delay_alu instid0(VALU_DEP_1) | instskip(SKIP_1) | instid1(VALU_DEP_1)
	v_add_f64_e32 v[38:39], v[128:129], v[38:39]
	v_fma_f64 v[128:129], v[136:137], s[8:9], -v[166:167]
	v_add_f64_e32 v[128:129], v[128:129], v[28:29]
	v_mul_f64_e32 v[28:29], s[24:25], v[132:133]
	s_delay_alu instid0(VALU_DEP_1) | instskip(SKIP_1) | instid1(VALU_DEP_2)
	v_fma_f64 v[130:131], v[138:139], s[8:9], v[28:29]
	v_fma_f64 v[28:29], v[138:139], s[8:9], -v[28:29]
	v_add_f64_e32 v[130:131], v[130:131], v[38:39]
	v_fma_f64 v[38:39], v[152:153], s[14:15], v[46:47]
	s_delay_alu instid0(VALU_DEP_1) | instskip(SKIP_1) | instid1(VALU_DEP_1)
	v_add_f64_e32 v[26:27], v[38:39], v[26:27]
	v_fma_f64 v[38:39], v[154:155], s[14:15], -v[48:49]
	v_add_f64_e32 v[30:31], v[38:39], v[30:31]
	v_fma_f64 v[38:39], v[68:69], s[20:21], v[64:65]
	s_delay_alu instid0(VALU_DEP_1) | instskip(SKIP_1) | instid1(VALU_DEP_1)
	v_add_f64_e32 v[26:27], v[38:39], v[26:27]
	;; [unrolled: 5-line block ×3, first 2 shown]
	v_fma_f64 v[38:39], v[140:141], s[18:19], -v[126:127]
	v_add_f64_e32 v[30:31], v[38:39], v[30:31]
	v_fma_f64 v[38:39], v[136:137], s[8:9], v[166:167]
	v_mul_f64_e32 v[166:167], s[38:39], v[216:217]
	s_delay_alu instid0(VALU_DEP_3) | instskip(NEXT) | instid1(VALU_DEP_3)
	v_add_f64_e32 v[126:127], v[28:29], v[30:31]
	v_add_f64_e32 v[124:125], v[38:39], v[26:27]
	v_mul_f64_e32 v[26:27], s[40:41], v[22:23]
	v_mul_f64_e32 v[38:39], s[38:39], v[158:159]
	;; [unrolled: 1-line block ×3, first 2 shown]
	s_delay_alu instid0(VALU_DEP_3) | instskip(NEXT) | instid1(VALU_DEP_3)
	v_fma_f64 v[28:29], v[160:161], s[8:9], -v[26:27]
	v_fma_f64 v[40:41], v[152:153], s[20:21], -v[38:39]
	v_fma_f64 v[26:27], v[160:161], s[8:9], v[26:27]
	s_delay_alu instid0(VALU_DEP_3) | instskip(SKIP_1) | instid1(VALU_DEP_3)
	v_add_f64_e32 v[28:29], v[28:29], v[32:33]
	v_fma_f64 v[32:33], v[162:163], s[8:9], v[30:31]
	v_add_f64_e32 v[26:27], v[26:27], v[62:63]
	v_fma_f64 v[30:31], v[162:163], s[8:9], -v[30:31]
	v_mul_f64_e32 v[62:63], s[24:25], v[190:191]
	v_add_f64_e32 v[28:29], v[40:41], v[28:29]
	v_mul_f64_e32 v[40:41], s[38:39], v[156:157]
	v_add_f64_e32 v[32:33], v[32:33], v[56:57]
	v_add_f64_e32 v[30:31], v[30:31], v[42:43]
	s_delay_alu instid0(VALU_DEP_3) | instskip(NEXT) | instid1(VALU_DEP_1)
	v_fma_f64 v[46:47], v[154:155], s[20:21], v[40:41]
	v_add_f64_e32 v[32:33], v[46:47], v[32:33]
	v_mul_f64_e32 v[46:47], s[26:27], v[150:151]
	s_delay_alu instid0(VALU_DEP_1) | instskip(NEXT) | instid1(VALU_DEP_1)
	v_fma_f64 v[48:49], v[68:69], s[16:17], -v[46:47]
	v_add_f64_e32 v[28:29], v[48:49], v[28:29]
	v_mul_f64_e32 v[48:49], s[26:27], v[148:149]
	s_delay_alu instid0(VALU_DEP_1) | instskip(NEXT) | instid1(VALU_DEP_1)
	v_fma_f64 v[50:51], v[70:71], s[16:17], v[48:49]
	v_add_f64_e32 v[32:33], v[50:51], v[32:33]
	v_mul_f64_e32 v[50:51], s[46:47], v[146:147]
	s_delay_alu instid0(VALU_DEP_1) | instskip(NEXT) | instid1(VALU_DEP_1)
	v_fma_f64 v[56:57], v[142:143], s[2:3], -v[50:51]
	v_add_f64_e32 v[28:29], v[56:57], v[28:29]
	v_mul_f64_e32 v[56:57], s[46:47], v[144:145]
	s_delay_alu instid0(VALU_DEP_1) | instskip(NEXT) | instid1(VALU_DEP_1)
	v_fma_f64 v[64:65], v[140:141], s[2:3], v[56:57]
	v_add_f64_e32 v[32:33], v[64:65], v[32:33]
	v_mul_f64_e32 v[64:65], s[44:45], v[134:135]
	s_delay_alu instid0(VALU_DEP_1) | instskip(NEXT) | instid1(VALU_DEP_1)
	v_fma_f64 v[66:67], v[136:137], s[18:19], -v[64:65]
	v_add_f64_e32 v[198:199], v[66:67], v[28:29]
	v_mul_f64_e32 v[28:29], s[44:45], v[132:133]
	s_delay_alu instid0(VALU_DEP_1) | instskip(SKIP_1) | instid1(VALU_DEP_2)
	v_fma_f64 v[66:67], v[138:139], s[18:19], v[28:29]
	v_fma_f64 v[28:29], v[138:139], s[18:19], -v[28:29]
	v_add_f64_e32 v[200:201], v[66:67], v[32:33]
	v_fma_f64 v[32:33], v[152:153], s[20:21], v[38:39]
	s_delay_alu instid0(VALU_DEP_1) | instskip(SKIP_1) | instid1(VALU_DEP_1)
	v_add_f64_e32 v[26:27], v[32:33], v[26:27]
	v_fma_f64 v[32:33], v[154:155], s[20:21], -v[40:41]
	v_add_f64_e32 v[30:31], v[32:33], v[30:31]
	v_fma_f64 v[32:33], v[68:69], s[16:17], v[46:47]
	s_delay_alu instid0(VALU_DEP_1) | instskip(SKIP_1) | instid1(VALU_DEP_1)
	v_add_f64_e32 v[26:27], v[32:33], v[26:27]
	;; [unrolled: 5-line block ×3, first 2 shown]
	v_fma_f64 v[32:33], v[140:141], s[2:3], -v[56:57]
	v_add_f64_e32 v[30:31], v[32:33], v[30:31]
	v_fma_f64 v[32:33], v[136:137], s[18:19], v[64:65]
	v_mul_f64_e32 v[64:65], s[24:25], v[238:239]
	s_delay_alu instid0(VALU_DEP_3) | instskip(NEXT) | instid1(VALU_DEP_3)
	v_add_f64_e32 v[204:205], v[28:29], v[30:31]
	v_add_f64_e32 v[202:203], v[32:33], v[26:27]
	v_mul_f64_e32 v[26:27], s[36:37], v[22:23]
	v_mul_f64_e32 v[30:31], s[36:37], v[164:165]
	;; [unrolled: 1-line block ×3, first 2 shown]
	s_delay_alu instid0(VALU_DEP_3) | instskip(NEXT) | instid1(VALU_DEP_3)
	v_fma_f64 v[28:29], v[160:161], s[16:17], -v[26:27]
	v_fma_f64 v[32:33], v[162:163], s[16:17], v[30:31]
	v_fma_f64 v[26:27], v[160:161], s[16:17], v[26:27]
	s_delay_alu instid0(VALU_DEP_3) | instskip(SKIP_1) | instid1(VALU_DEP_4)
	v_add_f64_e32 v[28:29], v[28:29], v[34:35]
	v_mul_f64_e32 v[34:35], s[28:29], v[158:159]
	v_add_f64_e32 v[32:33], v[32:33], v[58:59]
	s_delay_alu instid0(VALU_DEP_4) | instskip(SKIP_4) | instid1(VALU_DEP_4)
	v_add_f64_e32 v[24:25], v[26:27], v[24:25]
	v_fma_f64 v[26:27], v[162:163], s[16:17], -v[30:31]
	v_mul_f64_e32 v[58:59], s[22:23], v[190:191]
	v_fma_f64 v[38:39], v[152:153], s[18:19], -v[34:35]
	v_fma_f64 v[30:31], v[152:153], s[18:19], v[34:35]
	v_add_f64_e32 v[26:27], v[26:27], v[44:45]
	v_mul_f64_e32 v[44:45], s[36:37], v[132:133]
	s_delay_alu instid0(VALU_DEP_4) | instskip(SKIP_2) | instid1(VALU_DEP_2)
	v_add_f64_e32 v[28:29], v[38:39], v[28:29]
	v_mul_f64_e32 v[38:39], s[28:29], v[156:157]
	v_add_f64_e32 v[24:25], v[30:31], v[24:25]
	v_fma_f64 v[40:41], v[154:155], s[18:19], v[38:39]
	v_fma_f64 v[30:31], v[154:155], s[18:19], -v[38:39]
	s_delay_alu instid0(VALU_DEP_2) | instskip(SKIP_1) | instid1(VALU_DEP_3)
	v_add_f64_e32 v[32:33], v[40:41], v[32:33]
	v_mul_f64_e32 v[40:41], s[46:47], v[150:151]
	v_add_f64_e32 v[26:27], v[30:31], v[26:27]
	s_delay_alu instid0(VALU_DEP_2) | instskip(SKIP_1) | instid1(VALU_DEP_2)
	v_fma_f64 v[42:43], v[68:69], s[2:3], -v[40:41]
	v_fma_f64 v[30:31], v[68:69], s[2:3], v[40:41]
	v_add_f64_e32 v[28:29], v[42:43], v[28:29]
	v_mul_f64_e32 v[42:43], s[46:47], v[148:149]
	s_delay_alu instid0(VALU_DEP_3) | instskip(NEXT) | instid1(VALU_DEP_2)
	v_add_f64_e32 v[24:25], v[30:31], v[24:25]
	v_fma_f64 v[46:47], v[70:71], s[2:3], v[42:43]
	v_fma_f64 v[30:31], v[70:71], s[2:3], -v[42:43]
	s_delay_alu instid0(VALU_DEP_2) | instskip(SKIP_1) | instid1(VALU_DEP_3)
	v_add_f64_e32 v[32:33], v[46:47], v[32:33]
	v_mul_f64_e32 v[46:47], s[38:39], v[146:147]
	v_add_f64_e32 v[26:27], v[30:31], v[26:27]
	s_delay_alu instid0(VALU_DEP_2) | instskip(SKIP_1) | instid1(VALU_DEP_2)
	v_fma_f64 v[48:49], v[142:143], s[20:21], -v[46:47]
	v_fma_f64 v[30:31], v[142:143], s[20:21], v[46:47]
	v_add_f64_e32 v[28:29], v[48:49], v[28:29]
	v_mul_f64_e32 v[48:49], s[38:39], v[144:145]
	s_delay_alu instid0(VALU_DEP_3) | instskip(NEXT) | instid1(VALU_DEP_2)
	v_add_f64_e32 v[24:25], v[30:31], v[24:25]
	v_fma_f64 v[50:51], v[140:141], s[20:21], v[48:49]
	v_fma_f64 v[30:31], v[140:141], s[20:21], -v[48:49]
	s_delay_alu instid0(VALU_DEP_2) | instskip(SKIP_1) | instid1(VALU_DEP_3)
	v_add_f64_e32 v[32:33], v[50:51], v[32:33]
	v_mul_f64_e32 v[50:51], s[22:23], v[134:135]
	v_add_f64_e32 v[26:27], v[30:31], v[26:27]
	s_delay_alu instid0(VALU_DEP_2) | instskip(SKIP_2) | instid1(VALU_DEP_3)
	v_fma_f64 v[56:57], v[136:137], s[14:15], -v[50:51]
	v_fma_f64 v[30:31], v[136:137], s[14:15], v[50:51]
	v_mul_f64_e32 v[50:51], s[28:29], v[190:191]
	v_add_f64_e32 v[206:207], v[56:57], v[28:29]
	v_mul_f64_e32 v[28:29], s[22:23], v[132:133]
	s_delay_alu instid0(VALU_DEP_4)
	v_add_f64_e32 v[210:211], v[30:31], v[24:25]
	v_fma_f64 v[24:25], v[160:161], s[20:21], -v[22:23]
	v_mul_f64_e32 v[30:31], s[24:25], v[158:159]
	v_fma_f64 v[22:23], v[160:161], s[20:21], v[22:23]
	v_add_f64_e32 v[132:133], v[104:105], v[80:81]
	v_add_f64_e32 v[160:161], v[112:113], v[100:101]
	v_mul_f64_e32 v[158:159], s[24:25], v[194:195]
	v_fma_f64 v[56:57], v[138:139], s[14:15], v[28:29]
	v_fma_f64 v[28:29], v[138:139], s[14:15], -v[28:29]
	v_add_f64_e32 v[24:25], v[24:25], v[36:37]
	v_add_f64_e32 v[22:23], v[22:23], v[52:53]
	v_mul_f64_e32 v[52:53], s[28:29], v[238:239]
	v_add_f64_e32 v[208:209], v[56:57], v[32:33]
	v_add_f64_e32 v[212:213], v[28:29], v[26:27]
	v_mul_f64_e32 v[26:27], s[38:39], v[164:165]
	v_fma_f64 v[32:33], v[152:153], s[8:9], -v[30:31]
	v_add_f64_e32 v[164:165], v[118:119], v[94:95]
	v_mul_f64_e32 v[56:57], s[26:27], v[238:239]
	s_delay_alu instid0(VALU_DEP_4) | instskip(NEXT) | instid1(VALU_DEP_4)
	v_fma_f64 v[28:29], v[162:163], s[20:21], v[26:27]
	v_add_f64_e32 v[24:25], v[32:33], v[24:25]
	v_mul_f64_e32 v[32:33], s[24:25], v[156:157]
	v_add_f64_e32 v[156:157], v[122:123], v[90:91]
	s_delay_alu instid0(VALU_DEP_4) | instskip(SKIP_1) | instid1(VALU_DEP_4)
	v_add_f64_e32 v[28:29], v[28:29], v[60:61]
	v_mul_f64_e32 v[60:61], s[22:23], v[238:239]
	v_fma_f64 v[34:35], v[154:155], s[8:9], v[32:33]
	s_delay_alu instid0(VALU_DEP_1) | instskip(SKIP_2) | instid1(VALU_DEP_2)
	v_add_f64_e32 v[28:29], v[34:35], v[28:29]
	v_mul_f64_e32 v[34:35], s[44:45], v[150:151]
	v_mul_f64_e32 v[150:151], s[22:23], v[172:173]
	v_fma_f64 v[36:37], v[68:69], s[18:19], -v[34:35]
	s_delay_alu instid0(VALU_DEP_1) | instskip(SKIP_2) | instid1(VALU_DEP_2)
	v_add_f64_e32 v[24:25], v[36:37], v[24:25]
	v_mul_f64_e32 v[36:37], s[44:45], v[148:149]
	v_add_f64_e32 v[148:149], v[110:111], v[86:87]
	v_fma_f64 v[38:39], v[70:71], s[18:19], v[36:37]
	s_delay_alu instid0(VALU_DEP_1) | instskip(SKIP_2) | instid1(VALU_DEP_2)
	v_add_f64_e32 v[28:29], v[38:39], v[28:29]
	v_mul_f64_e32 v[38:39], s[22:23], v[146:147]
	v_mul_f64_e32 v[146:147], s[36:37], v[192:193]
	v_fma_f64 v[40:41], v[142:143], s[14:15], -v[38:39]
	s_delay_alu instid0(VALU_DEP_1) | instskip(SKIP_2) | instid1(VALU_DEP_2)
	v_add_f64_e32 v[24:25], v[40:41], v[24:25]
	v_mul_f64_e32 v[40:41], s[22:23], v[144:145]
	v_add_f64_e32 v[144:145], v[120:121], v[88:89]
	v_fma_f64 v[42:43], v[140:141], s[14:15], v[40:41]
	s_delay_alu instid0(VALU_DEP_1) | instskip(SKIP_2) | instid1(VALU_DEP_2)
	v_add_f64_e32 v[28:29], v[42:43], v[28:29]
	v_mul_f64_e32 v[42:43], s[36:37], v[134:135]
	v_mul_f64_e32 v[134:135], s[38:39], v[194:195]
	v_fma_f64 v[46:47], v[136:137], s[16:17], -v[42:43]
	s_delay_alu instid0(VALU_DEP_1) | instskip(SKIP_1) | instid1(VALU_DEP_1)
	v_add_f64_e32 v[218:219], v[46:47], v[24:25]
	v_fma_f64 v[24:25], v[138:139], s[16:17], v[44:45]
	v_add_f64_e32 v[220:221], v[24:25], v[28:29]
	v_fma_f64 v[24:25], v[162:163], s[20:21], -v[26:27]
	v_fma_f64 v[26:27], v[152:153], s[8:9], v[30:31]
	v_fma_f64 v[28:29], v[154:155], s[8:9], -v[32:33]
	v_fma_f64 v[30:31], v[68:69], s[18:19], v[34:35]
	v_fma_f64 v[32:33], v[70:71], s[18:19], -v[36:37]
	v_mul_f64_e32 v[70:71], s[30:31], v[238:239]
	v_add_f64_e32 v[152:153], v[116:117], v[92:93]
	v_mul_f64_e32 v[154:155], s[34:35], v[174:175]
	v_mul_f64_e32 v[162:163], s[40:41], v[178:179]
	;; [unrolled: 1-line block ×3, first 2 shown]
	v_add_f64_e32 v[24:25], v[24:25], v[54:55]
	v_add_f64_e32 v[22:23], v[26:27], v[22:23]
	v_fma_f64 v[26:27], v[142:143], s[14:15], v[38:39]
	v_mul_f64_e32 v[142:143], s[40:41], v[182:183]
	v_mul_f64_e32 v[54:55], s[26:27], v[190:191]
	v_add_f64_e32 v[24:25], v[28:29], v[24:25]
	v_add_f64_e32 v[22:23], v[30:31], v[22:23]
	v_fma_f64 v[28:29], v[140:141], s[14:15], -v[40:41]
	v_add_f64_e32 v[140:141], v[106:107], v[82:83]
	s_delay_alu instid0(VALU_DEP_4) | instskip(NEXT) | instid1(VALU_DEP_4)
	v_add_f64_e32 v[24:25], v[32:33], v[24:25]
	v_add_f64_e32 v[22:23], v[26:27], v[22:23]
	v_fma_f64 v[26:27], v[136:137], s[16:17], v[42:43]
	v_add_f64_e32 v[136:137], v[108:109], v[84:85]
	v_mul_f64_e32 v[42:43], s[28:29], v[174:175]
	v_add_f64_e32 v[24:25], v[28:29], v[24:25]
	v_fma_f64 v[28:29], v[138:139], s[16:17], -v[44:45]
	v_add_f64_e32 v[222:223], v[26:27], v[22:23]
	v_mul_f64_e32 v[22:23], s[30:31], v[190:191]
	v_mul_f64_e32 v[26:27], s[28:29], v[172:173]
	;; [unrolled: 1-line block ×3, first 2 shown]
	v_add_f64_e32 v[224:225], v[28:29], v[24:25]
	v_mul_f64_e32 v[24:25], s[28:29], v[176:177]
	scratch_store_b64 off, v[26:27], off offset:352 ; 8-byte Folded Spill
	v_fma_f64 v[26:27], v[140:141], s[18:19], -v[26:27]
	s_clause 0x1
	scratch_store_b64 off, v[24:25], off offset:320
	scratch_store_b64 off, v[22:23], off offset:472
	v_fma_f64 v[22:23], v[186:187], s[20:21], v[22:23]
	v_fma_f64 v[24:25], v[132:133], s[18:19], v[24:25]
	s_delay_alu instid0(VALU_DEP_2) | instskip(NEXT) | instid1(VALU_DEP_1)
	v_add_f64_e32 v[22:23], v[72:73], v[22:23]
	v_add_f64_e32 v[22:23], v[24:25], v[22:23]
	v_fma_f64 v[24:25], v[196:197], s[20:21], -v[70:71]
	s_delay_alu instid0(VALU_DEP_1) | instskip(NEXT) | instid1(VALU_DEP_1)
	v_add_f64_e32 v[24:25], v[74:75], v[24:25]
	v_add_f64_e32 v[24:25], v[26:27], v[24:25]
	v_mul_f64_e32 v[26:27], s[26:27], v[180:181]
	scratch_store_b64 off, v[26:27], off offset:336 ; 8-byte Folded Spill
	v_fma_f64 v[26:27], v[136:137], s[16:17], v[26:27]
	s_delay_alu instid0(VALU_DEP_1) | instskip(SKIP_3) | instid1(VALU_DEP_1)
	v_add_f64_e32 v[22:23], v[26:27], v[22:23]
	v_mul_f64_e32 v[26:27], s[26:27], v[174:175]
	scratch_store_b64 off, v[26:27], off offset:384 ; 8-byte Folded Spill
	v_fma_f64 v[26:27], v[148:149], s[16:17], -v[26:27]
	v_add_f64_e32 v[24:25], v[26:27], v[24:25]
	v_mul_f64_e32 v[26:27], s[22:23], v[182:183]
	scratch_store_b64 off, v[26:27], off offset:368 ; 8-byte Folded Spill
	v_fma_f64 v[26:27], v[144:145], s[14:15], v[26:27]
	s_delay_alu instid0(VALU_DEP_1) | instskip(SKIP_3) | instid1(VALU_DEP_1)
	v_add_f64_e32 v[22:23], v[26:27], v[22:23]
	v_mul_f64_e32 v[26:27], s[22:23], v[178:179]
	scratch_store_b64 off, v[26:27], off offset:416 ; 8-byte Folded Spill
	v_fma_f64 v[26:27], v[156:157], s[14:15], -v[26:27]
	;; [unrolled: 9-line block ×4, first 2 shown]
	v_add_f64_e32 v[28:29], v[22:23], v[24:25]
	v_fma_f64 v[22:23], v[186:187], s[18:19], v[50:51]
	s_delay_alu instid0(VALU_DEP_1)
	v_add_f64_e32 v[24:25], v[72:73], v[22:23]
	v_mul_f64_e32 v[22:23], s[22:23], v[176:177]
	scratch_store_b128 off, v[26:29], off offset:16 ; 16-byte Folded Spill
	v_fma_f64 v[28:29], v[140:141], s[14:15], -v[150:151]
	scratch_store_b64 off, v[22:23], off offset:480 ; 8-byte Folded Spill
	v_fma_f64 v[26:27], v[132:133], s[14:15], v[22:23]
	v_mul_f64_e32 v[22:23], s[34:35], v[180:181]
	s_delay_alu instid0(VALU_DEP_2) | instskip(SKIP_3) | instid1(VALU_DEP_1)
	v_add_f64_e32 v[24:25], v[26:27], v[24:25]
	v_fma_f64 v[26:27], v[196:197], s[18:19], -v[52:53]
	scratch_store_b64 off, v[22:23], off offset:488 ; 8-byte Folded Spill
	v_add_f64_e32 v[26:27], v[74:75], v[26:27]
	v_add_f64_e32 v[26:27], v[28:29], v[26:27]
	v_fma_f64 v[28:29], v[136:137], s[2:3], v[22:23]
	s_delay_alu instid0(VALU_DEP_1) | instskip(SKIP_1) | instid1(VALU_DEP_1)
	v_add_f64_e32 v[24:25], v[28:29], v[24:25]
	v_fma_f64 v[28:29], v[148:149], s[2:3], -v[154:155]
	v_add_f64_e32 v[26:27], v[28:29], v[26:27]
	v_fma_f64 v[28:29], v[144:145], s[8:9], v[142:143]
	s_delay_alu instid0(VALU_DEP_1) | instskip(SKIP_1) | instid1(VALU_DEP_1)
	v_add_f64_e32 v[24:25], v[28:29], v[24:25]
	v_fma_f64 v[28:29], v[156:157], s[8:9], -v[162:163]
	v_add_f64_e32 v[26:27], v[28:29], v[26:27]
	v_fma_f64 v[28:29], v[152:153], s[16:17], v[146:147]
	s_delay_alu instid0(VALU_DEP_1) | instskip(SKIP_1) | instid1(VALU_DEP_1)
	v_add_f64_e32 v[24:25], v[28:29], v[24:25]
	v_fma_f64 v[28:29], v[164:165], s[16:17], -v[230:231]
	v_add_f64_e32 v[26:27], v[28:29], v[26:27]
	v_fma_f64 v[28:29], v[160:161], s[20:21], v[134:135]
	s_delay_alu instid0(VALU_DEP_1) | instskip(SKIP_2) | instid1(VALU_DEP_2)
	v_add_f64_e32 v[22:23], v[28:29], v[24:25]
	v_fma_f64 v[24:25], v[168:169], s[20:21], -v[166:167]
	v_fma_f64 v[28:29], v[140:141], s[2:3], -v[228:229]
	v_add_f64_e32 v[24:25], v[24:25], v[26:27]
	v_fma_f64 v[26:27], v[132:133], s[2:3], v[138:139]
	scratch_store_b128 off, v[22:25], off offset:32 ; 16-byte Folded Spill
	v_fma_f64 v[24:25], v[186:187], s[16:17], v[54:55]
	s_delay_alu instid0(VALU_DEP_1) | instskip(NEXT) | instid1(VALU_DEP_1)
	v_add_f64_e32 v[24:25], v[72:73], v[24:25]
	v_add_f64_e32 v[24:25], v[26:27], v[24:25]
	v_fma_f64 v[26:27], v[196:197], s[16:17], -v[56:57]
	s_delay_alu instid0(VALU_DEP_1) | instskip(NEXT) | instid1(VALU_DEP_1)
	v_add_f64_e32 v[26:27], v[74:75], v[26:27]
	v_add_f64_e32 v[26:27], v[28:29], v[26:27]
	v_fma_f64 v[28:29], v[136:137], s[14:15], v[214:215]
	s_delay_alu instid0(VALU_DEP_1) | instskip(SKIP_1) | instid1(VALU_DEP_1)
	v_add_f64_e32 v[24:25], v[28:29], v[24:25]
	v_fma_f64 v[28:29], v[148:149], s[14:15], -v[232:233]
	v_add_f64_e32 v[26:27], v[28:29], v[26:27]
	v_fma_f64 v[28:29], v[144:145], s[20:21], v[170:171]
	s_delay_alu instid0(VALU_DEP_1) | instskip(SKIP_1) | instid1(VALU_DEP_1)
	v_add_f64_e32 v[24:25], v[28:29], v[24:25]
	v_fma_f64 v[28:29], v[156:157], s[20:21], -v[236:237]
	;; [unrolled: 5-line block ×3, first 2 shown]
	v_add_f64_e32 v[26:27], v[28:29], v[26:27]
	v_fma_f64 v[28:29], v[160:161], s[8:9], v[158:159]
	s_delay_alu instid0(VALU_DEP_1) | instskip(SKIP_2) | instid1(VALU_DEP_2)
	v_add_f64_e32 v[22:23], v[28:29], v[24:25]
	v_fma_f64 v[24:25], v[168:169], s[8:9], -v[242:243]
	v_fma_f64 v[28:29], v[140:141], s[8:9], -v[254:255]
	v_add_f64_e32 v[24:25], v[24:25], v[26:27]
	v_fma_f64 v[26:27], v[132:133], s[8:9], v[234:235]
	scratch_store_b128 off, v[22:25], off offset:48 ; 16-byte Folded Spill
	v_fma_f64 v[24:25], v[186:187], s[14:15], v[58:59]
	s_delay_alu instid0(VALU_DEP_1) | instskip(NEXT) | instid1(VALU_DEP_1)
	v_add_f64_e32 v[24:25], v[72:73], v[24:25]
	v_add_f64_e32 v[24:25], v[26:27], v[24:25]
	v_fma_f64 v[26:27], v[196:197], s[14:15], -v[60:61]
	s_delay_alu instid0(VALU_DEP_1) | instskip(NEXT) | instid1(VALU_DEP_1)
	v_add_f64_e32 v[26:27], v[74:75], v[26:27]
	v_add_f64_e32 v[26:27], v[28:29], v[26:27]
	v_fma_f64 v[28:29], v[136:137], s[20:21], v[244:245]
	s_delay_alu instid0(VALU_DEP_1) | instskip(SKIP_1) | instid1(VALU_DEP_1)
	v_add_f64_e32 v[28:29], v[28:29], v[24:25]
	v_mul_f64_e32 v[24:25], s[38:39], v[174:175]
	v_fma_f64 v[30:31], v[148:149], s[20:21], -v[24:25]
	s_delay_alu instid0(VALU_DEP_1) | instskip(SKIP_1) | instid1(VALU_DEP_1)
	v_add_f64_e32 v[26:27], v[30:31], v[26:27]
	v_fma_f64 v[30:31], v[144:145], s[16:17], v[250:251]
	v_add_f64_e32 v[30:31], v[30:31], v[28:29]
	v_mul_f64_e32 v[28:29], s[26:27], v[178:179]
	s_delay_alu instid0(VALU_DEP_1) | instskip(NEXT) | instid1(VALU_DEP_1)
	v_fma_f64 v[32:33], v[156:157], s[16:17], -v[28:29]
	v_add_f64_e32 v[26:27], v[32:33], v[26:27]
	v_fma_f64 v[32:33], v[152:153], s[2:3], v[252:253]
	s_delay_alu instid0(VALU_DEP_1) | instskip(SKIP_1) | instid1(VALU_DEP_1)
	v_add_f64_e32 v[30:31], v[32:33], v[30:31]
	v_fma_f64 v[32:33], v[164:165], s[2:3], -v[36:37]
	v_add_f64_e32 v[26:27], v[32:33], v[26:27]
	v_fma_f64 v[32:33], v[160:161], s[18:19], v[246:247]
	s_delay_alu instid0(VALU_DEP_1) | instskip(SKIP_1) | instid1(VALU_DEP_1)
	v_add_f64_e32 v[38:39], v[32:33], v[30:31]
	v_mul_f64_e32 v[32:33], s[44:45], v[216:217]
	v_fma_f64 v[30:31], v[168:169], s[18:19], -v[32:33]
	s_delay_alu instid0(VALU_DEP_1)
	v_add_f64_e32 v[40:41], v[30:31], v[26:27]
	v_fma_f64 v[26:27], v[186:187], s[8:9], v[62:63]
	v_fma_f64 v[30:31], v[132:133], s[16:17], v[248:249]
	scratch_store_b128 off, v[38:41], off offset:64 ; 16-byte Folded Spill
	v_add_f64_e32 v[26:27], v[72:73], v[26:27]
	v_mul_f64_e32 v[40:41], s[36:37], v[172:173]
	s_delay_alu instid0(VALU_DEP_2) | instskip(SKIP_1) | instid1(VALU_DEP_3)
	v_add_f64_e32 v[30:31], v[30:31], v[26:27]
	v_fma_f64 v[26:27], v[196:197], s[8:9], -v[64:65]
	v_fma_f64 v[34:35], v[140:141], s[16:17], -v[40:41]
	s_delay_alu instid0(VALU_DEP_2) | instskip(NEXT) | instid1(VALU_DEP_1)
	v_add_f64_e32 v[26:27], v[74:75], v[26:27]
	v_add_f64_e32 v[34:35], v[34:35], v[26:27]
	v_mul_f64_e32 v[26:27], s[28:29], v[180:181]
	s_delay_alu instid0(VALU_DEP_1) | instskip(NEXT) | instid1(VALU_DEP_1)
	v_fma_f64 v[38:39], v[136:137], s[18:19], v[26:27]
	v_add_f64_e32 v[30:31], v[38:39], v[30:31]
	v_fma_f64 v[38:39], v[148:149], s[18:19], -v[42:43]
	s_delay_alu instid0(VALU_DEP_1) | instskip(SKIP_1) | instid1(VALU_DEP_1)
	v_add_f64_e32 v[38:39], v[38:39], v[34:35]
	v_mul_f64_e32 v[34:35], s[46:47], v[182:183]
	v_fma_f64 v[44:45], v[144:145], s[2:3], v[34:35]
	s_delay_alu instid0(VALU_DEP_1) | instskip(SKIP_1) | instid1(VALU_DEP_1)
	v_add_f64_e32 v[30:31], v[44:45], v[30:31]
	v_mul_f64_e32 v[44:45], s[46:47], v[178:179]
	v_fma_f64 v[46:47], v[156:157], s[2:3], -v[44:45]
	s_delay_alu instid0(VALU_DEP_1) | instskip(SKIP_1) | instid1(VALU_DEP_1)
	v_add_f64_e32 v[46:47], v[46:47], v[38:39]
	v_mul_f64_e32 v[38:39], s[38:39], v[192:193]
	v_fma_f64 v[48:49], v[152:153], s[20:21], v[38:39]
	s_delay_alu instid0(VALU_DEP_1) | instskip(SKIP_1) | instid1(VALU_DEP_1)
	v_add_f64_e32 v[188:189], v[48:49], v[30:31]
	v_mul_f64_e32 v[48:49], s[38:39], v[184:185]
	;; [unrolled: 8-line block ×3, first 2 shown]
	v_fma_f64 v[188:189], v[168:169], s[14:15], -v[46:47]
	s_delay_alu instid0(VALU_DEP_1)
	v_add_f64_e32 v[68:69], v[188:189], v[22:23]
	scratch_load_b32 v23, off, off          ; 4-byte Folded Reload
	scratch_store_b128 off, v[66:69], off offset:80 ; 16-byte Folded Spill
	scratch_load_b32 v66, off, off offset:12 ; 4-byte Folded Reload
	global_wb scope:SCOPE_SE
	s_wait_loadcnt 0x0
	s_wait_storecnt 0x0
	s_wait_kmcnt 0x0
	s_barrier_signal -1
	s_barrier_wait -1
	global_inv scope:SCOPE_SE
	v_mul_lo_u16 v22, v23, 13
	s_delay_alu instid0(VALU_DEP_1) | instskip(SKIP_1) | instid1(VALU_DEP_1)
	v_and_b32_e32 v22, 0xffff, v22
	v_lshlrev_b32_e32 v188, 4, v66
	v_lshl_add_u32 v68, v22, 4, v188
	ds_store_b128 v68, v[0:3]
	ds_store_b128 v68, v[8:11] offset:16
	ds_store_b128 v68, v[16:19] offset:32
	ds_store_b128 v68, v[128:131] offset:48
	ds_store_b128 v68, v[198:201] offset:64
	ds_store_b128 v68, v[206:209] offset:80
	ds_store_b128 v68, v[218:221] offset:96
	ds_store_b128 v68, v[222:225] offset:112
	ds_store_b128 v68, v[210:213] offset:128
	ds_store_b128 v68, v[202:205] offset:144
	ds_store_b128 v68, v[124:127] offset:160
	ds_store_b128 v68, v[12:15] offset:176
	ds_store_b128 v68, v[4:7] offset:192
	v_add_co_u32 v0, null, v23, 13
	s_delay_alu instid0(VALU_DEP_1)
	v_mul_u32_u24_e32 v0, 13, v0
	scratch_store_b32 off, v0, off offset:316 ; 4-byte Folded Spill
	s_and_saveexec_b32 s33, vcc_lo
	s_cbranch_execz .LBB0_7
; %bb.6:
	v_add_f64_e32 v[0:1], v[74:75], v[98:99]
	v_add_f64_e32 v[2:3], v[72:73], v[96:97]
	v_mul_f64_e32 v[12:13], s[14:15], v[196:197]
	v_mul_f64_e32 v[8:9], s[8:9], v[196:197]
	;; [unrolled: 1-line block ×7, first 2 shown]
	v_add_f64_e32 v[0:1], v[0:1], v[106:107]
	v_add_f64_e32 v[2:3], v[2:3], v[104:105]
	;; [unrolled: 1-line block ×3, first 2 shown]
	scratch_load_b64 v[60:61], off, off offset:472 th:TH_LOAD_LU ; 8-byte Folded Reload
	v_add_f64_e32 v[8:9], v[64:65], v[8:9]
	v_add_f64_e64 v[10:11], v[10:11], -v[62:63]
	v_add_f64_e64 v[14:15], v[14:15], -v[58:59]
	;; [unrolled: 1-line block ×3, first 2 shown]
	v_mul_f64_e32 v[54:55], s[34:35], v[190:191]
	v_mul_f64_e32 v[58:59], s[20:21], v[186:187]
	v_add_f64_e32 v[16:17], v[56:57], v[16:17]
	v_add_f64_e32 v[22:23], v[52:53], v[22:23]
	v_mul_f64_e32 v[52:53], s[18:19], v[186:187]
	v_add_f64_e32 v[0:1], v[0:1], v[110:111]
	v_add_f64_e32 v[2:3], v[2:3], v[108:109]
	;; [unrolled: 1-line block ×4, first 2 shown]
	v_mul_f64_e32 v[8:9], s[20:21], v[140:141]
	v_add_f64_e32 v[64:65], v[72:73], v[10:11]
	v_mul_f64_e32 v[10:11], s[38:39], v[176:177]
	v_fma_f64 v[56:57], v[186:187], s[2:3], v[54:55]
	v_fma_f64 v[54:55], v[186:187], s[2:3], -v[54:55]
	v_add_f64_e32 v[18:19], v[72:73], v[18:19]
	v_add_f64_e32 v[12:13], v[74:75], v[22:23]
	v_mul_f64_e32 v[22:23], s[8:9], v[148:149]
	v_add_f64_e64 v[50:51], v[52:53], -v[50:51]
	v_mul_f64_e32 v[52:53], s[20:21], v[196:197]
	v_add_f64_e32 v[16:17], v[74:75], v[16:17]
	v_add_f64_e32 v[0:1], v[0:1], v[122:123]
	;; [unrolled: 1-line block ×6, first 2 shown]
	v_mul_f64_e32 v[69:70], s[8:9], v[144:145]
	v_add_f64_e32 v[0:1], v[0:1], v[118:119]
	v_add_f64_e32 v[2:3], v[2:3], v[116:117]
	s_delay_alu instid0(VALU_DEP_3) | instskip(NEXT) | instid1(VALU_DEP_3)
	v_add_f64_e64 v[69:70], v[69:70], -v[142:143]
	v_add_f64_e32 v[0:1], v[0:1], v[114:115]
	s_delay_alu instid0(VALU_DEP_3) | instskip(NEXT) | instid1(VALU_DEP_2)
	v_add_f64_e32 v[2:3], v[2:3], v[112:113]
	v_add_f64_e32 v[0:1], v[0:1], v[102:103]
	s_delay_alu instid0(VALU_DEP_2) | instskip(NEXT) | instid1(VALU_DEP_2)
	v_add_f64_e32 v[2:3], v[2:3], v[100:101]
	v_add_f64_e32 v[0:1], v[0:1], v[94:95]
	s_delay_alu instid0(VALU_DEP_2) | instskip(NEXT) | instid1(VALU_DEP_2)
	v_add_f64_e32 v[2:3], v[2:3], v[92:93]
	v_add_f64_e32 v[0:1], v[0:1], v[90:91]
	s_delay_alu instid0(VALU_DEP_2) | instskip(NEXT) | instid1(VALU_DEP_2)
	v_add_f64_e32 v[2:3], v[2:3], v[88:89]
	v_add_f64_e32 v[0:1], v[0:1], v[86:87]
	s_delay_alu instid0(VALU_DEP_2) | instskip(SKIP_3) | instid1(VALU_DEP_4)
	v_add_f64_e32 v[2:3], v[2:3], v[84:85]
	v_mul_f64_e32 v[84:85], s[16:17], v[168:169]
	s_wait_loadcnt 0x0
	v_add_f64_e64 v[58:59], v[58:59], -v[60:61]
	v_add_f64_e32 v[0:1], v[0:1], v[82:83]
	s_delay_alu instid0(VALU_DEP_4) | instskip(SKIP_1) | instid1(VALU_DEP_3)
	v_add_f64_e32 v[4:5], v[2:3], v[80:81]
	v_mul_f64_e32 v[82:83], s[36:37], v[194:195]
	v_add_f64_e32 v[2:3], v[0:1], v[78:79]
	s_delay_alu instid0(VALU_DEP_3)
	v_add_f64_e32 v[0:1], v[4:5], v[76:77]
	v_mul_f64_e32 v[4:5], s[2:3], v[196:197]
	v_add_f64_e32 v[76:77], v[72:73], v[14:15]
	v_add_f64_e32 v[14:15], v[72:73], v[50:51]
	;; [unrolled: 1-line block ×4, first 2 shown]
	v_fma_f64 v[6:7], v[238:239], s[46:47], v[4:5]
	v_fma_f64 v[4:5], v[238:239], s[34:35], v[4:5]
	s_delay_alu instid0(VALU_DEP_2) | instskip(NEXT) | instid1(VALU_DEP_2)
	v_add_f64_e32 v[6:7], v[74:75], v[6:7]
	v_add_f64_e32 v[60:61], v[74:75], v[4:5]
	v_fma_f64 v[4:5], v[172:173], s[30:31], v[8:9]
	v_fma_f64 v[8:9], v[172:173], s[38:39], v[8:9]
	s_delay_alu instid0(VALU_DEP_2) | instskip(SKIP_1) | instid1(VALU_DEP_3)
	v_add_f64_e32 v[4:5], v[4:5], v[6:7]
	v_fma_f64 v[6:7], v[132:133], s[20:21], v[10:11]
	v_add_f64_e32 v[8:9], v[8:9], v[60:61]
	v_fma_f64 v[10:11], v[132:133], s[20:21], -v[10:11]
	scratch_load_b64 v[60:61], off, off offset:488 th:TH_LOAD_LU ; 8-byte Folded Reload
	v_add_f64_e32 v[6:7], v[6:7], v[56:57]
	v_fma_f64 v[56:57], v[174:175], s[40:41], v[22:23]
	v_fma_f64 v[22:23], v[174:175], s[24:25], v[22:23]
	v_add_f64_e32 v[10:11], v[10:11], v[54:55]
	v_fma_f64 v[54:55], v[160:161], s[16:17], -v[82:83]
	s_delay_alu instid0(VALU_DEP_4) | instskip(SKIP_2) | instid1(VALU_DEP_2)
	v_add_f64_e32 v[4:5], v[56:57], v[4:5]
	v_mul_f64_e32 v[56:57], s[24:25], v[180:181]
	v_add_f64_e32 v[8:9], v[22:23], v[8:9]
	v_fma_f64 v[58:59], v[136:137], s[8:9], v[56:57]
	v_fma_f64 v[22:23], v[136:137], s[8:9], -v[56:57]
	scratch_load_b64 v[56:57], off, off offset:480 th:TH_LOAD_LU ; 8-byte Folded Reload
	v_add_f64_e32 v[6:7], v[58:59], v[6:7]
	v_mul_f64_e32 v[58:59], s[18:19], v[156:157]
	v_add_f64_e32 v[10:11], v[22:23], v[10:11]
	s_delay_alu instid0(VALU_DEP_2) | instskip(SKIP_1) | instid1(VALU_DEP_2)
	v_fma_f64 v[71:72], v[178:179], s[28:29], v[58:59]
	v_fma_f64 v[58:59], v[178:179], s[44:45], v[58:59]
	v_add_f64_e32 v[4:5], v[71:72], v[4:5]
	v_mul_f64_e32 v[71:72], s[44:45], v[182:183]
	s_delay_alu instid0(VALU_DEP_3) | instskip(SKIP_1) | instid1(VALU_DEP_3)
	v_add_f64_e32 v[8:9], v[58:59], v[8:9]
	v_mul_f64_e32 v[58:59], s[2:3], v[136:137]
	v_fma_f64 v[73:74], v[144:145], s[18:19], v[71:72]
	v_fma_f64 v[22:23], v[144:145], s[18:19], -v[71:72]
	v_mul_f64_e32 v[71:72], s[16:17], v[164:165]
	s_delay_alu instid0(VALU_DEP_3) | instskip(SKIP_1) | instid1(VALU_DEP_4)
	v_add_f64_e32 v[6:7], v[73:74], v[6:7]
	v_mul_f64_e32 v[73:74], s[14:15], v[164:165]
	v_add_f64_e32 v[10:11], v[22:23], v[10:11]
	s_delay_alu instid0(VALU_DEP_4)
	v_add_f64_e32 v[71:72], v[230:231], v[71:72]
	s_wait_loadcnt 0x1
	v_add_f64_e64 v[58:59], v[58:59], -v[60:61]
	v_mul_f64_e32 v[60:61], s[8:9], v[156:157]
	v_fma_f64 v[78:79], v[184:185], s[42:43], v[73:74]
	v_fma_f64 v[73:74], v[184:185], s[22:23], v[73:74]
	s_delay_alu instid0(VALU_DEP_3) | instskip(NEXT) | instid1(VALU_DEP_3)
	v_add_f64_e32 v[60:61], v[162:163], v[60:61]
	v_add_f64_e32 v[4:5], v[78:79], v[4:5]
	v_mul_f64_e32 v[78:79], s[22:23], v[192:193]
	s_delay_alu instid0(VALU_DEP_4) | instskip(NEXT) | instid1(VALU_DEP_2)
	v_add_f64_e32 v[8:9], v[73:74], v[8:9]
	v_fma_f64 v[80:81], v[152:153], s[14:15], v[78:79]
	v_fma_f64 v[22:23], v[152:153], s[14:15], -v[78:79]
	s_delay_alu instid0(VALU_DEP_2) | instskip(SKIP_1) | instid1(VALU_DEP_3)
	v_add_f64_e32 v[80:81], v[80:81], v[6:7]
	v_fma_f64 v[6:7], v[216:217], s[26:27], v[84:85]
	v_add_f64_e32 v[22:23], v[22:23], v[10:11]
	s_delay_alu instid0(VALU_DEP_2) | instskip(SKIP_1) | instid1(VALU_DEP_1)
	v_add_f64_e32 v[6:7], v[6:7], v[4:5]
	v_fma_f64 v[4:5], v[160:161], s[16:17], v[82:83]
	v_add_f64_e32 v[4:5], v[4:5], v[80:81]
	v_fma_f64 v[80:81], v[216:217], s[36:37], v[84:85]
	s_delay_alu instid0(VALU_DEP_1) | instskip(SKIP_3) | instid1(VALU_DEP_2)
	v_add_f64_e32 v[10:11], v[80:81], v[8:9]
	v_add_f64_e32 v[8:9], v[54:55], v[22:23]
	v_mul_f64_e32 v[22:23], s[14:15], v[140:141]
	v_mul_f64_e32 v[54:55], s[14:15], v[132:133]
	v_add_f64_e32 v[22:23], v[150:151], v[22:23]
	s_wait_loadcnt 0x0
	s_delay_alu instid0(VALU_DEP_2) | instskip(SKIP_1) | instid1(VALU_DEP_3)
	v_add_f64_e64 v[54:55], v[54:55], -v[56:57]
	v_mul_f64_e32 v[56:57], s[2:3], v[148:149]
	v_add_f64_e32 v[12:13], v[22:23], v[12:13]
	s_delay_alu instid0(VALU_DEP_3) | instskip(NEXT) | instid1(VALU_DEP_3)
	v_add_f64_e32 v[14:15], v[54:55], v[14:15]
	v_add_f64_e32 v[56:57], v[154:155], v[56:57]
	v_mul_f64_e32 v[22:23], s[16:17], v[152:153]
	v_mul_f64_e32 v[54:55], s[20:21], v[168:169]
	s_delay_alu instid0(VALU_DEP_4) | instskip(NEXT) | instid1(VALU_DEP_4)
	v_add_f64_e32 v[14:15], v[58:59], v[14:15]
	v_add_f64_e32 v[12:13], v[56:57], v[12:13]
	s_delay_alu instid0(VALU_DEP_4)
	v_add_f64_e64 v[22:23], v[22:23], -v[146:147]
	v_mul_f64_e32 v[56:57], s[20:21], v[160:161]
	v_add_f64_e32 v[54:55], v[166:167], v[54:55]
	v_mul_f64_e32 v[58:59], s[14:15], v[136:137]
	v_add_f64_e32 v[14:15], v[69:70], v[14:15]
	v_add_f64_e32 v[12:13], v[60:61], v[12:13]
	v_mul_f64_e32 v[60:61], s[20:21], v[156:157]
	v_add_f64_e64 v[56:57], v[56:57], -v[134:135]
	v_mul_f64_e32 v[69:70], s[20:21], v[144:145]
	v_add_f64_e64 v[58:59], v[58:59], -v[214:215]
	v_add_f64_e32 v[22:23], v[22:23], v[14:15]
	v_add_f64_e32 v[12:13], v[71:72], v[12:13]
	;; [unrolled: 1-line block ×3, first 2 shown]
	v_mul_f64_e32 v[71:72], s[18:19], v[164:165]
	v_add_f64_e64 v[69:70], v[69:70], -v[170:171]
	s_delay_alu instid0(VALU_DEP_4)
	v_add_f64_e32 v[14:15], v[54:55], v[12:13]
	v_add_f64_e32 v[12:13], v[56:57], v[22:23]
	v_mul_f64_e32 v[22:23], s[2:3], v[140:141]
	v_mul_f64_e32 v[54:55], s[2:3], v[132:133]
	;; [unrolled: 1-line block ×3, first 2 shown]
	v_add_f64_e32 v[71:72], v[240:241], v[71:72]
	s_delay_alu instid0(VALU_DEP_4) | instskip(NEXT) | instid1(VALU_DEP_4)
	v_add_f64_e32 v[22:23], v[228:229], v[22:23]
	v_add_f64_e64 v[54:55], v[54:55], -v[138:139]
	s_delay_alu instid0(VALU_DEP_4) | instskip(NEXT) | instid1(VALU_DEP_3)
	v_add_f64_e32 v[56:57], v[232:233], v[56:57]
	v_add_f64_e32 v[16:17], v[22:23], v[16:17]
	s_delay_alu instid0(VALU_DEP_3) | instskip(SKIP_2) | instid1(VALU_DEP_4)
	v_add_f64_e32 v[18:19], v[54:55], v[18:19]
	v_mul_f64_e32 v[22:23], s[18:19], v[152:153]
	v_mul_f64_e32 v[54:55], s[8:9], v[168:169]
	v_add_f64_e32 v[16:17], v[56:57], v[16:17]
	s_delay_alu instid0(VALU_DEP_4) | instskip(NEXT) | instid1(VALU_DEP_4)
	v_add_f64_e32 v[18:19], v[58:59], v[18:19]
	v_add_f64_e64 v[22:23], v[22:23], -v[226:227]
	v_mul_f64_e32 v[56:57], s[8:9], v[160:161]
	v_add_f64_e32 v[54:55], v[242:243], v[54:55]
	v_mul_f64_e32 v[58:59], s[16:17], v[156:157]
	v_add_f64_e32 v[16:17], v[60:61], v[16:17]
	v_add_f64_e32 v[18:19], v[69:70], v[18:19]
	v_mul_f64_e32 v[60:61], s[2:3], v[164:165]
	v_add_f64_e64 v[56:57], v[56:57], -v[158:159]
	v_add_f64_e32 v[28:29], v[28:29], v[58:59]
	v_mul_f64_e32 v[58:59], s[16:17], v[144:145]
	v_add_f64_e32 v[16:17], v[71:72], v[16:17]
	v_add_f64_e32 v[22:23], v[22:23], v[18:19]
	;; [unrolled: 1-line block ×3, first 2 shown]
	v_mul_f64_e32 v[60:61], s[2:3], v[152:153]
	v_add_f64_e64 v[58:59], v[58:59], -v[250:251]
	v_add_f64_e32 v[18:19], v[54:55], v[16:17]
	v_add_f64_e32 v[16:17], v[56:57], v[22:23]
	v_mul_f64_e32 v[22:23], s[8:9], v[140:141]
	v_mul_f64_e32 v[54:55], s[8:9], v[132:133]
	;; [unrolled: 1-line block ×3, first 2 shown]
	v_add_f64_e64 v[60:61], v[60:61], -v[252:253]
	s_delay_alu instid0(VALU_DEP_4) | instskip(NEXT) | instid1(VALU_DEP_4)
	v_add_f64_e32 v[22:23], v[254:255], v[22:23]
	v_add_f64_e64 v[54:55], v[54:55], -v[234:235]
	s_delay_alu instid0(VALU_DEP_4) | instskip(SKIP_1) | instid1(VALU_DEP_4)
	v_add_f64_e32 v[24:25], v[24:25], v[56:57]
	v_mul_f64_e32 v[56:57], s[20:21], v[136:137]
	v_add_f64_e32 v[22:23], v[22:23], v[66:67]
	s_delay_alu instid0(VALU_DEP_4) | instskip(NEXT) | instid1(VALU_DEP_3)
	v_add_f64_e32 v[54:55], v[54:55], v[76:77]
	v_add_f64_e64 v[56:57], v[56:57], -v[244:245]
	s_delay_alu instid0(VALU_DEP_3) | instskip(NEXT) | instid1(VALU_DEP_2)
	v_add_f64_e32 v[22:23], v[24:25], v[22:23]
	v_add_f64_e32 v[24:25], v[56:57], v[54:55]
	v_mul_f64_e32 v[54:55], s[18:19], v[168:169]
	s_delay_alu instid0(VALU_DEP_3) | instskip(SKIP_1) | instid1(VALU_DEP_4)
	v_add_f64_e32 v[22:23], v[28:29], v[22:23]
	v_mul_f64_e32 v[28:29], s[18:19], v[160:161]
	v_add_f64_e32 v[24:25], v[58:59], v[24:25]
	s_delay_alu instid0(VALU_DEP_4) | instskip(NEXT) | instid1(VALU_DEP_4)
	v_add_f64_e32 v[32:33], v[32:33], v[54:55]
	v_add_f64_e32 v[22:23], v[36:37], v[22:23]
	s_delay_alu instid0(VALU_DEP_4) | instskip(NEXT) | instid1(VALU_DEP_4)
	v_add_f64_e64 v[28:29], v[28:29], -v[246:247]
	v_add_f64_e32 v[36:37], v[60:61], v[24:25]
	s_delay_alu instid0(VALU_DEP_3) | instskip(SKIP_1) | instid1(VALU_DEP_3)
	v_add_f64_e32 v[24:25], v[32:33], v[22:23]
	v_mul_f64_e32 v[32:33], s[16:17], v[132:133]
	v_add_f64_e32 v[22:23], v[28:29], v[36:37]
	v_mul_f64_e32 v[28:29], s[16:17], v[140:141]
	v_mul_f64_e32 v[36:37], s[18:19], v[148:149]
	s_delay_alu instid0(VALU_DEP_4) | instskip(NEXT) | instid1(VALU_DEP_3)
	v_add_f64_e64 v[32:33], v[32:33], -v[248:249]
	v_add_f64_e32 v[28:29], v[40:41], v[28:29]
	v_mul_f64_e32 v[40:41], s[18:19], v[136:137]
	s_delay_alu instid0(VALU_DEP_4)
	v_add_f64_e32 v[36:37], v[42:43], v[36:37]
	v_mul_f64_e32 v[42:43], s[2:3], v[144:145]
	v_add_f64_e32 v[32:33], v[32:33], v[64:65]
	v_add_f64_e32 v[28:29], v[28:29], v[62:63]
	v_add_f64_e64 v[26:27], v[40:41], -v[26:27]
	v_mul_f64_e32 v[40:41], s[2:3], v[156:157]
	v_add_f64_e64 v[34:35], v[42:43], -v[34:35]
	v_mul_f64_e32 v[42:43], s[20:21], v[164:165]
	v_add_f64_e32 v[28:29], v[36:37], v[28:29]
	v_add_f64_e32 v[26:27], v[26:27], v[32:33]
	;; [unrolled: 1-line block ×3, first 2 shown]
	v_mul_f64_e32 v[32:33], s[14:15], v[168:169]
	v_add_f64_e32 v[42:43], v[48:49], v[42:43]
	v_mul_f64_e32 v[44:45], s[20:21], v[152:153]
	scratch_load_b64 v[36:37], off, off offset:384 th:TH_LOAD_LU ; 8-byte Folded Reload
	v_add_f64_e32 v[26:27], v[34:35], v[26:27]
	v_add_f64_e32 v[28:29], v[40:41], v[28:29]
	;; [unrolled: 1-line block ×3, first 2 shown]
	v_mul_f64_e32 v[34:35], s[14:15], v[160:161]
	v_add_f64_e64 v[38:39], v[44:45], -v[38:39]
	s_clause 0x2
	scratch_load_b64 v[40:41], off, off offset:416 th:TH_LOAD_LU
	scratch_load_b64 v[44:45], off, off offset:448 th:TH_LOAD_LU
	;; [unrolled: 1-line block ×3, first 2 shown]
	v_add_f64_e32 v[28:29], v[42:43], v[28:29]
	scratch_load_b64 v[42:43], off, off offset:368 th:TH_LOAD_LU ; 8-byte Folded Reload
	v_add_f64_e64 v[30:31], v[34:35], -v[30:31]
	scratch_load_b64 v[34:35], off, off offset:320 th:TH_LOAD_LU ; 8-byte Folded Reload
	v_add_f64_e32 v[26:27], v[38:39], v[26:27]
	scratch_load_b64 v[38:39], off, off offset:336 th:TH_LOAD_LU ; 8-byte Folded Reload
	v_add_f64_e32 v[28:29], v[32:33], v[28:29]
	;; [unrolled: 2-line block ×3, first 2 shown]
	v_mul_f64_e32 v[30:31], s[18:19], v[140:141]
	s_wait_loadcnt 0x0
	s_delay_alu instid0(VALU_DEP_1) | instskip(SKIP_1) | instid1(VALU_DEP_2)
	v_add_f64_e32 v[30:31], v[32:33], v[30:31]
	v_mul_f64_e32 v[32:33], s[18:19], v[132:133]
	v_add_f64_e32 v[30:31], v[30:31], v[50:51]
	s_delay_alu instid0(VALU_DEP_2) | instskip(SKIP_1) | instid1(VALU_DEP_2)
	v_add_f64_e64 v[32:33], v[32:33], -v[34:35]
	v_mul_f64_e32 v[34:35], s[16:17], v[148:149]
	v_add_f64_e32 v[32:33], v[32:33], v[52:53]
	s_delay_alu instid0(VALU_DEP_2) | instskip(SKIP_1) | instid1(VALU_DEP_2)
	v_add_f64_e32 v[34:35], v[36:37], v[34:35]
	v_mul_f64_e32 v[36:37], s[16:17], v[136:137]
	v_add_f64_e32 v[30:31], v[34:35], v[30:31]
	s_delay_alu instid0(VALU_DEP_2) | instskip(SKIP_2) | instid1(VALU_DEP_3)
	v_add_f64_e64 v[36:37], v[36:37], -v[38:39]
	v_mul_f64_e32 v[38:39], s[14:15], v[156:157]
	v_mul_f64_e32 v[34:35], s[2:3], v[168:169]
	v_add_f64_e32 v[32:33], v[36:37], v[32:33]
	s_delay_alu instid0(VALU_DEP_3)
	v_add_f64_e32 v[38:39], v[40:41], v[38:39]
	scratch_load_b64 v[36:37], off, off offset:464 th:TH_LOAD_LU ; 8-byte Folded Reload
	v_mul_f64_e32 v[40:41], s[14:15], v[144:145]
	v_add_f64_e32 v[30:31], v[38:39], v[30:31]
	scratch_load_b64 v[38:39], off, off offset:432 th:TH_LOAD_LU ; 8-byte Folded Reload
	v_add_f64_e64 v[40:41], v[40:41], -v[42:43]
	v_mul_f64_e32 v[42:43], s[8:9], v[164:165]
	s_delay_alu instid0(VALU_DEP_2) | instskip(NEXT) | instid1(VALU_DEP_2)
	v_add_f64_e32 v[32:33], v[40:41], v[32:33]
	v_add_f64_e32 v[42:43], v[44:45], v[42:43]
	v_mul_f64_e32 v[44:45], s[8:9], v[152:153]
	s_delay_alu instid0(VALU_DEP_2) | instskip(NEXT) | instid1(VALU_DEP_2)
	v_add_f64_e32 v[30:31], v[42:43], v[30:31]
	v_add_f64_e64 v[44:45], v[44:45], -v[46:47]
	s_wait_loadcnt 0x1
	v_add_f64_e32 v[34:35], v[36:37], v[34:35]
	v_mul_f64_e32 v[36:37], s[2:3], v[160:161]
	s_wait_loadcnt 0x0
	s_delay_alu instid0(VALU_DEP_1) | instskip(NEXT) | instid1(VALU_DEP_4)
	v_add_f64_e64 v[36:37], v[36:37], -v[38:39]
	v_add_f64_e32 v[38:39], v[44:45], v[32:33]
	s_delay_alu instid0(VALU_DEP_4)
	v_add_f64_e32 v[32:33], v[34:35], v[30:31]
	scratch_load_b32 v34, off, off offset:316 ; 4-byte Folded Reload
	v_add_f64_e32 v[30:31], v[36:37], v[38:39]
	s_wait_loadcnt 0x0
	v_lshl_add_u32 v34, v34, 4, v188
	ds_store_b128 v34, v[12:15] offset:32
	ds_store_b128 v34, v[16:19] offset:48
	;; [unrolled: 1-line block ×5, first 2 shown]
	scratch_load_b128 v[8:11], off, off offset:80 ; 16-byte Folded Reload
	s_wait_loadcnt 0x0
	ds_store_b128 v34, v[8:11] offset:128
	scratch_load_b128 v[8:11], off, off offset:64 ; 16-byte Folded Reload
	s_wait_loadcnt 0x0
	ds_store_b128 v34, v[8:11] offset:144
	;; [unrolled: 3-line block ×4, first 2 shown]
	ds_store_b128 v34, v[4:7] offset:112
	ds_store_b128 v34, v[30:33] offset:16
	ds_store_b128 v34, v[0:3]
	scratch_load_b128 v[0:3], off, off offset:16 ; 16-byte Folded Reload
	s_wait_loadcnt 0x0
	ds_store_b128 v34, v[0:3] offset:192
.LBB0_7:
	s_or_b32 exec_lo, exec_lo, s33
	scratch_load_b32 v71, off, off          ; 4-byte Folded Reload
	global_wb scope:SCOPE_SE
	s_wait_storecnt 0x0
	s_wait_loadcnt_dscnt 0x0
	s_barrier_signal -1
	s_barrier_wait -1
	global_inv scope:SCOPE_SE
	s_mov_b32 s2, 0xe8584caa
	s_mov_b32 s3, 0x3febb67a
	;; [unrolled: 1-line block ×3, first 2 shown]
	s_wait_alu 0xfffe
	s_mov_b32 s8, s2
	s_mov_b32 s22, 0x37e14327
	;; [unrolled: 1-line block ×11, first 2 shown]
	s_wait_alu 0xfffe
	s_mov_b32 s26, s20
	s_mov_b32 s24, s14
	;; [unrolled: 1-line block ×4, first 2 shown]
	v_lshlrev_b32_e32 v0, 5, v71
	s_clause 0x1
	global_load_b128 v[76:79], v0, s[0:1]
	global_load_b128 v[72:75], v0, s[0:1] offset:16
	ds_load_b128 v[0:3], v20 offset:1456
	ds_load_b128 v[4:7], v20 offset:2912
	;; [unrolled: 1-line block ×4, first 2 shown]
	s_wait_loadcnt_dscnt 0x103
	v_mul_f64_e32 v[12:13], v[2:3], v[78:79]
	v_mul_f64_e32 v[14:15], v[0:1], v[78:79]
	s_wait_loadcnt_dscnt 0x2
	v_mul_f64_e32 v[16:17], v[6:7], v[74:75]
	v_mul_f64_e32 v[18:19], v[4:5], v[74:75]
	s_delay_alu instid0(VALU_DEP_4) | instskip(NEXT) | instid1(VALU_DEP_4)
	v_fma_f64 v[47:48], v[0:1], v[76:77], -v[12:13]
	v_fma_f64 v[49:50], v[2:3], v[76:77], v[14:15]
	ds_load_b128 v[0:3], v20 offset:3120
	v_fma_f64 v[51:52], v[4:5], v[72:73], -v[16:17]
	v_fma_f64 v[53:54], v[6:7], v[72:73], v[18:19]
	v_add_nc_u16 v14, v71, 26
	s_delay_alu instid0(VALU_DEP_1) | instskip(SKIP_3) | instid1(VALU_DEP_2)
	v_and_b32_e32 v15, 0xff, v14
	s_wait_dscnt 0x0
	v_mul_f64_e32 v[4:5], v[2:3], v[74:75]
	v_mul_f64_e32 v[6:7], v[0:1], v[74:75]
	v_fma_f64 v[63:64], v[0:1], v[72:73], -v[4:5]
	s_delay_alu instid0(VALU_DEP_2) | instskip(SKIP_3) | instid1(VALU_DEP_2)
	v_fma_f64 v[65:66], v[2:3], v[72:73], v[6:7]
	ds_load_b128 v[2:5], v20 offset:1872
	v_mul_f64_e32 v[22:23], v[10:11], v[78:79]
	v_mul_f64_e32 v[12:13], v[8:9], v[78:79]
	v_fma_f64 v[59:60], v[8:9], v[76:77], -v[22:23]
	v_mul_lo_u16 v8, 0x4f, v15
	s_delay_alu instid0(VALU_DEP_3) | instskip(NEXT) | instid1(VALU_DEP_2)
	v_fma_f64 v[61:62], v[10:11], v[76:77], v[12:13]
	v_lshrrev_b16 v8, 10, v8
	s_delay_alu instid0(VALU_DEP_1) | instskip(NEXT) | instid1(VALU_DEP_1)
	v_mul_lo_u16 v8, v8, 13
	v_sub_nc_u16 v38, v14, v8
	s_delay_alu instid0(VALU_DEP_1) | instskip(SKIP_1) | instid1(VALU_DEP_2)
	v_lshlrev_b16 v8, 1, v38
	v_and_b32_e32 v38, 0xff, v38
	v_and_b32_e32 v8, 0xfe, v8
	s_delay_alu instid0(VALU_DEP_1)
	v_lshlrev_b32_e32 v8, 4, v8
	global_load_b128 v[9:12], v8, s[0:1]
	v_add_f64_e32 v[69:70], v[59:60], v[63:64]
	v_add_f64_e32 v[80:81], v[61:62], v[65:66]
	s_wait_loadcnt_dscnt 0x0
	v_mul_f64_e32 v[0:1], v[4:5], v[11:12]
	scratch_store_b128 off, v[9:12], off offset:336 ; 16-byte Folded Spill
	v_fma_f64 v[0:1], v[2:3], v[9:10], -v[0:1]
	v_mul_f64_e32 v[2:3], v[2:3], v[11:12]
	s_delay_alu instid0(VALU_DEP_1) | instskip(SKIP_4) | instid1(VALU_DEP_1)
	v_fma_f64 v[2:3], v[4:5], v[9:10], v[2:3]
	global_load_b128 v[10:13], v8, s[0:1] offset:16
	ds_load_b128 v[6:9], v20 offset:3328
	s_wait_loadcnt_dscnt 0x0
	v_mul_f64_e32 v[4:5], v[8:9], v[12:13]
	v_fma_f64 v[4:5], v[6:7], v[10:11], -v[4:5]
	v_mul_f64_e32 v[6:7], v[6:7], v[12:13]
	s_delay_alu instid0(VALU_DEP_1) | instskip(SKIP_1) | instid1(VALU_DEP_1)
	v_fma_f64 v[8:9], v[8:9], v[10:11], v[6:7]
	v_add_nc_u16 v6, v71, 39
	v_and_b32_e32 v7, 0xff, v6
	s_delay_alu instid0(VALU_DEP_1) | instskip(NEXT) | instid1(VALU_DEP_1)
	v_mul_lo_u16 v7, 0x4f, v7
	v_lshrrev_b16 v7, 10, v7
	s_delay_alu instid0(VALU_DEP_1) | instskip(NEXT) | instid1(VALU_DEP_1)
	v_mul_lo_u16 v7, v7, 13
	v_sub_nc_u16 v39, v6, v7
	s_delay_alu instid0(VALU_DEP_1) | instskip(NEXT) | instid1(VALU_DEP_1)
	v_lshlrev_b16 v6, 1, v39
	v_and_b32_e32 v6, 0xfe, v6
	s_delay_alu instid0(VALU_DEP_1)
	v_lshlrev_b32_e32 v14, 4, v6
	s_clause 0x1
	global_load_b128 v[15:18], v14, s[0:1]
	global_load_b128 v[22:25], v14, s[0:1] offset:16
	scratch_store_b128 off, v[10:13], off offset:320 ; 16-byte Folded Spill
	ds_load_b128 v[10:13], v20 offset:2080
	s_wait_loadcnt 0x1
	scratch_store_b128 off, v[15:18], off offset:368 ; 16-byte Folded Spill
	s_wait_dscnt 0x0
	v_mul_f64_e32 v[6:7], v[12:13], v[17:18]
	s_delay_alu instid0(VALU_DEP_1) | instskip(SKIP_1) | instid1(VALU_DEP_1)
	v_fma_f64 v[6:7], v[10:11], v[15:16], -v[6:7]
	v_mul_f64_e32 v[10:11], v[10:11], v[17:18]
	v_fma_f64 v[10:11], v[12:13], v[15:16], v[10:11]
	ds_load_b128 v[14:17], v20 offset:3536
	s_wait_loadcnt_dscnt 0x0
	v_mul_f64_e32 v[12:13], v[16:17], v[24:25]
	s_delay_alu instid0(VALU_DEP_1) | instskip(SKIP_1) | instid1(VALU_DEP_1)
	v_fma_f64 v[12:13], v[14:15], v[22:23], -v[12:13]
	v_mul_f64_e32 v[14:15], v[14:15], v[24:25]
	v_fma_f64 v[16:17], v[16:17], v[22:23], v[14:15]
	v_add_nc_u16 v14, v71, 52
	s_delay_alu instid0(VALU_DEP_1) | instskip(NEXT) | instid1(VALU_DEP_1)
	v_and_b32_e32 v15, 0xff, v14
	v_mul_lo_u16 v15, 0x4f, v15
	s_delay_alu instid0(VALU_DEP_1) | instskip(NEXT) | instid1(VALU_DEP_1)
	v_lshrrev_b16 v15, 10, v15
	v_mul_lo_u16 v15, v15, 13
	s_delay_alu instid0(VALU_DEP_1) | instskip(NEXT) | instid1(VALU_DEP_1)
	v_sub_nc_u16 v40, v14, v15
	v_lshlrev_b16 v14, 1, v40
	s_delay_alu instid0(VALU_DEP_1) | instskip(NEXT) | instid1(VALU_DEP_1)
	v_and_b32_e32 v14, 0xfe, v14
	v_lshlrev_b32_e32 v26, 4, v14
	global_load_b128 v[27:30], v26, s[0:1]
	scratch_store_b128 off, v[22:25], off offset:384 ; 16-byte Folded Spill
	ds_load_b128 v[22:25], v20 offset:2288
	s_wait_loadcnt 0x0
	scratch_store_b128 off, v[27:30], off offset:400 ; 16-byte Folded Spill
	s_wait_dscnt 0x0
	v_mul_f64_e32 v[14:15], v[24:25], v[29:30]
	v_mul_f64_e32 v[18:19], v[22:23], v[29:30]
	s_delay_alu instid0(VALU_DEP_2) | instskip(NEXT) | instid1(VALU_DEP_2)
	v_fma_f64 v[14:15], v[22:23], v[27:28], -v[14:15]
	v_fma_f64 v[18:19], v[24:25], v[27:28], v[18:19]
	global_load_b128 v[28:31], v26, s[0:1] offset:16
	ds_load_b128 v[24:27], v20 offset:3744
	s_wait_loadcnt_dscnt 0x0
	v_mul_f64_e32 v[22:23], v[26:27], v[30:31]
	s_delay_alu instid0(VALU_DEP_1) | instskip(SKIP_1) | instid1(VALU_DEP_1)
	v_fma_f64 v[22:23], v[24:25], v[28:29], -v[22:23]
	v_mul_f64_e32 v[24:25], v[24:25], v[30:31]
	v_fma_f64 v[26:27], v[26:27], v[28:29], v[24:25]
	v_add_nc_u16 v24, v71, 0x41
	s_delay_alu instid0(VALU_DEP_1) | instskip(NEXT) | instid1(VALU_DEP_1)
	v_and_b32_e32 v25, 0xff, v24
	v_mul_lo_u16 v25, 0x4f, v25
	s_delay_alu instid0(VALU_DEP_1) | instskip(NEXT) | instid1(VALU_DEP_1)
	v_lshrrev_b16 v25, 10, v25
	v_mul_lo_u16 v25, v25, 13
	s_delay_alu instid0(VALU_DEP_1) | instskip(NEXT) | instid1(VALU_DEP_1)
	v_sub_nc_u16 v41, v24, v25
	v_lshlrev_b16 v24, 1, v41
	s_delay_alu instid0(VALU_DEP_1) | instskip(NEXT) | instid1(VALU_DEP_1)
	v_and_b32_e32 v24, 0xfe, v24
	v_lshlrev_b32_e32 v32, 4, v24
	s_clause 0x1
	global_load_b128 v[33:36], v32, s[0:1]
	global_load_b128 v[42:45], v32, s[0:1] offset:16
	scratch_store_b128 off, v[28:31], off offset:416 ; 16-byte Folded Spill
	ds_load_b128 v[28:31], v20 offset:2496
	s_wait_loadcnt 0x1
	scratch_store_b128 off, v[33:36], off offset:432 ; 16-byte Folded Spill
	s_wait_dscnt 0x0
	v_mul_f64_e32 v[24:25], v[30:31], v[35:36]
	s_wait_loadcnt 0x0
	scratch_store_b128 off, v[42:45], off offset:448 ; 16-byte Folded Spill
	v_fma_f64 v[24:25], v[28:29], v[33:34], -v[24:25]
	v_mul_f64_e32 v[28:29], v[28:29], v[35:36]
	s_delay_alu instid0(VALU_DEP_1) | instskip(SKIP_3) | instid1(VALU_DEP_1)
	v_fma_f64 v[28:29], v[30:31], v[33:34], v[28:29]
	ds_load_b128 v[32:35], v20 offset:3952
	s_wait_dscnt 0x0
	v_mul_f64_e32 v[30:31], v[34:35], v[44:45]
	v_fma_f64 v[30:31], v[32:33], v[42:43], -v[30:31]
	v_mul_f64_e32 v[32:33], v[32:33], v[44:45]
	s_delay_alu instid0(VALU_DEP_1) | instskip(SKIP_3) | instid1(VALU_DEP_1)
	v_fma_f64 v[34:35], v[34:35], v[42:43], v[32:33]
	v_add_nc_u16 v32, v71, 0x4e
	ds_load_b128 v[43:46], v20 offset:2704
	v_and_b32_e32 v33, 0xff, v32
	v_mul_lo_u16 v33, 0x4f, v33
	s_delay_alu instid0(VALU_DEP_1) | instskip(NEXT) | instid1(VALU_DEP_1)
	v_lshrrev_b16 v33, 10, v33
	v_mul_lo_u16 v33, v33, 13
	s_delay_alu instid0(VALU_DEP_1) | instskip(NEXT) | instid1(VALU_DEP_1)
	v_sub_nc_u16 v42, v32, v33
	v_lshlrev_b16 v32, 1, v42
	s_delay_alu instid0(VALU_DEP_1) | instskip(NEXT) | instid1(VALU_DEP_1)
	v_and_b32_e32 v32, 0xfe, v32
	v_lshlrev_b32_e32 v67, 4, v32
	s_clause 0x1
	global_load_b128 v[55:58], v67, s[0:1]
	global_load_b128 v[120:123], v67, s[0:1] offset:16
	v_lshl_add_u32 v67, v38, 4, v188
	v_and_b32_e32 v38, 0xff, v39
	s_delay_alu instid0(VALU_DEP_1)
	v_lshl_add_u32 v38, v38, 4, v188
	s_wait_loadcnt_dscnt 0x100
	v_mul_f64_e32 v[32:33], v[45:46], v[57:58]
	v_mul_f64_e32 v[36:37], v[43:44], v[57:58]
	scratch_store_b128 off, v[55:58], off offset:352 ; 16-byte Folded Spill
	v_add_f64_e32 v[57:58], v[49:50], v[53:54]
	v_fma_f64 v[32:33], v[43:44], v[55:56], -v[32:33]
	v_fma_f64 v[36:37], v[45:46], v[55:56], v[36:37]
	ds_load_b128 v[43:46], v20
	v_add_f64_e32 v[55:56], v[47:48], v[51:52]
	s_wait_dscnt 0x0
	v_fma_f64 v[57:58], v[57:58], -0.5, v[45:46]
	v_add_f64_e32 v[45:46], v[45:46], v[49:50]
	v_add_f64_e64 v[49:50], v[49:50], -v[53:54]
	s_delay_alu instid0(VALU_DEP_4) | instskip(SKIP_1) | instid1(VALU_DEP_4)
	v_fma_f64 v[55:56], v[55:56], -0.5, v[43:44]
	v_add_f64_e32 v[43:44], v[43:44], v[47:48]
	v_add_f64_e32 v[45:46], v[45:46], v[53:54]
	v_add_f64_e64 v[53:54], v[47:48], -v[51:52]
	s_delay_alu instid0(VALU_DEP_4) | instskip(NEXT) | instid1(VALU_DEP_4)
	v_fma_f64 v[47:48], v[49:50], s[2:3], v[55:56]
	v_add_f64_e32 v[43:44], v[43:44], v[51:52]
	v_fma_f64 v[51:52], v[49:50], s[8:9], v[55:56]
	s_delay_alu instid0(VALU_DEP_4)
	v_fma_f64 v[49:50], v[53:54], s[8:9], v[57:58]
	v_fma_f64 v[53:54], v[53:54], s[2:3], v[57:58]
	ds_load_b128 v[55:58], v20 offset:208
	s_wait_dscnt 0x0
	v_fma_f64 v[80:81], v[80:81], -0.5, v[57:58]
	v_add_f64_e32 v[57:58], v[57:58], v[61:62]
	v_fma_f64 v[69:70], v[69:70], -0.5, v[55:56]
	v_add_f64_e32 v[55:56], v[55:56], v[59:60]
	v_add_f64_e64 v[61:62], v[61:62], -v[65:66]
	s_delay_alu instid0(VALU_DEP_4) | instskip(SKIP_1) | instid1(VALU_DEP_4)
	v_add_f64_e32 v[57:58], v[57:58], v[65:66]
	v_add_f64_e64 v[65:66], v[59:60], -v[63:64]
	v_add_f64_e32 v[55:56], v[55:56], v[63:64]
	s_delay_alu instid0(VALU_DEP_4)
	v_fma_f64 v[59:60], v[61:62], s[2:3], v[69:70]
	v_fma_f64 v[63:64], v[61:62], s[8:9], v[69:70]
	s_wait_loadcnt 0x0
	v_mul_f64_e32 v[69:70], v[118:119], v[122:123]
	v_fma_f64 v[61:62], v[65:66], s[8:9], v[80:81]
	v_fma_f64 v[65:66], v[65:66], s[2:3], v[80:81]
	v_mul_f64_e32 v[80:81], v[116:117], v[122:123]
	s_delay_alu instid0(VALU_DEP_4) | instskip(NEXT) | instid1(VALU_DEP_2)
	v_fma_f64 v[69:70], v[116:117], v[120:121], -v[69:70]
	v_fma_f64 v[80:81], v[118:119], v[120:121], v[80:81]
	ds_load_b128 v[116:119], v20 offset:1248
	ds_load_b128 v[124:127], v20 offset:416
	ds_load_b128 v[128:131], v20 offset:624
	ds_load_b128 v[132:135], v20 offset:832
	ds_load_b128 v[136:139], v20 offset:1040
	global_wb scope:SCOPE_SE
	s_wait_storecnt_dscnt 0x0
	s_barrier_signal -1
	s_barrier_wait -1
	global_inv scope:SCOPE_SE
	ds_store_b128 v20, v[43:46]
	ds_store_b128 v20, v[55:58] offset:624
	ds_store_b128 v20, v[47:50] offset:208
	;; [unrolled: 1-line block ×5, first 2 shown]
	v_add_f64_e32 v[43:44], v[0:1], v[4:5]
	v_add_f64_e64 v[55:56], v[10:11], -v[16:17]
	v_add_f64_e64 v[59:60], v[18:19], -v[26:27]
	v_add_f64_e64 v[63:64], v[28:29], -v[34:35]
	v_add_f64_e32 v[51:52], v[124:125], v[0:1]
	v_add_f64_e64 v[82:83], v[36:37], -v[80:81]
	v_fma_f64 v[47:48], v[43:44], -0.5, v[124:125]
	v_add_f64_e32 v[43:44], v[2:3], v[8:9]
	s_delay_alu instid0(VALU_DEP_1) | instskip(SKIP_2) | instid1(VALU_DEP_2)
	v_fma_f64 v[49:50], v[43:44], -0.5, v[126:127]
	v_add_f64_e32 v[43:44], v[126:127], v[2:3]
	v_add_f64_e64 v[2:3], v[2:3], -v[8:9]
	v_add_f64_e32 v[45:46], v[43:44], v[8:9]
	v_add_f64_e32 v[43:44], v[51:52], v[4:5]
	v_add_f64_e64 v[4:5], v[0:1], -v[4:5]
	s_delay_alu instid0(VALU_DEP_4) | instskip(SKIP_2) | instid1(VALU_DEP_4)
	v_fma_f64 v[0:1], v[2:3], s[2:3], v[47:48]
	v_fma_f64 v[47:48], v[2:3], s[8:9], v[47:48]
	v_add_f64_e32 v[8:9], v[128:129], v[6:7]
	v_fma_f64 v[2:3], v[4:5], s[8:9], v[49:50]
	v_fma_f64 v[49:50], v[4:5], s[2:3], v[49:50]
	v_add_f64_e32 v[4:5], v[6:7], v[12:13]
	s_delay_alu instid0(VALU_DEP_4) | instskip(SKIP_1) | instid1(VALU_DEP_3)
	v_add_f64_e32 v[8:9], v[8:9], v[12:13]
	v_add_f64_e64 v[12:13], v[6:7], -v[12:13]
	v_fma_f64 v[51:52], v[4:5], -0.5, v[128:129]
	v_add_f64_e32 v[4:5], v[10:11], v[16:17]
	s_delay_alu instid0(VALU_DEP_1) | instskip(SKIP_1) | instid1(VALU_DEP_2)
	v_fma_f64 v[53:54], v[4:5], -0.5, v[130:131]
	v_add_f64_e32 v[4:5], v[130:131], v[10:11]
	v_fma_f64 v[6:7], v[12:13], s[8:9], v[53:54]
	v_fma_f64 v[53:54], v[12:13], s[2:3], v[53:54]
	v_add_f64_e32 v[12:13], v[14:15], v[22:23]
	s_delay_alu instid0(VALU_DEP_4)
	v_add_f64_e32 v[10:11], v[4:5], v[16:17]
	v_fma_f64 v[4:5], v[55:56], s[2:3], v[51:52]
	v_fma_f64 v[51:52], v[55:56], s[8:9], v[51:52]
	v_add_f64_e32 v[16:17], v[132:133], v[14:15]
	ds_store_b128 v67, v[43:46] offset:1248
	v_fma_f64 v[55:56], v[12:13], -0.5, v[132:133]
	ds_store_b128 v38, v[8:11] offset:1872
	v_add_f64_e32 v[12:13], v[18:19], v[26:27]
	v_and_b32_e32 v8, 0xff, v40
	v_add_f64_e32 v[16:17], v[16:17], v[22:23]
	v_add_f64_e64 v[22:23], v[14:15], -v[22:23]
	s_delay_alu instid0(VALU_DEP_3) | instskip(SKIP_1) | instid1(VALU_DEP_1)
	v_lshl_add_u32 v10, v8, 4, v188
	v_and_b32_e32 v8, 0xff, v41
	v_lshl_add_u32 v9, v8, 4, v188
	v_and_b32_e32 v8, 0xff, v42
	s_delay_alu instid0(VALU_DEP_1) | instskip(SKIP_2) | instid1(VALU_DEP_2)
	v_lshl_add_u32 v8, v8, 4, v188
	v_fma_f64 v[57:58], v[12:13], -0.5, v[134:135]
	v_add_f64_e32 v[12:13], v[134:135], v[18:19]
	v_fma_f64 v[14:15], v[22:23], s[8:9], v[57:58]
	v_fma_f64 v[57:58], v[22:23], s[2:3], v[57:58]
	v_add_f64_e32 v[22:23], v[24:25], v[30:31]
	s_delay_alu instid0(VALU_DEP_4)
	v_add_f64_e32 v[18:19], v[12:13], v[26:27]
	v_fma_f64 v[12:13], v[59:60], s[2:3], v[55:56]
	v_fma_f64 v[55:56], v[59:60], s[8:9], v[55:56]
	v_add_f64_e32 v[26:27], v[136:137], v[24:25]
	v_fma_f64 v[59:60], v[22:23], -0.5, v[136:137]
	v_add_f64_e32 v[22:23], v[28:29], v[34:35]
	s_delay_alu instid0(VALU_DEP_3) | instskip(SKIP_1) | instid1(VALU_DEP_3)
	v_add_f64_e32 v[26:27], v[26:27], v[30:31]
	v_add_f64_e64 v[30:31], v[24:25], -v[30:31]
	v_fma_f64 v[61:62], v[22:23], -0.5, v[138:139]
	v_add_f64_e32 v[22:23], v[138:139], v[28:29]
	s_delay_alu instid0(VALU_DEP_2) | instskip(SKIP_2) | instid1(VALU_DEP_4)
	v_fma_f64 v[24:25], v[30:31], s[8:9], v[61:62]
	v_fma_f64 v[61:62], v[30:31], s[2:3], v[61:62]
	v_add_f64_e32 v[30:31], v[32:33], v[69:70]
	v_add_f64_e32 v[28:29], v[22:23], v[34:35]
	v_fma_f64 v[22:23], v[63:64], s[2:3], v[59:60]
	v_fma_f64 v[59:60], v[63:64], s[8:9], v[59:60]
	v_add_f64_e32 v[34:35], v[116:117], v[32:33]
	ds_store_b128 v10, v[16:19] offset:2496
	v_fma_f64 v[63:64], v[30:31], -0.5, v[116:117]
	ds_store_b128 v9, v[26:29] offset:3120
	v_add_f64_e32 v[30:31], v[36:37], v[80:81]
	v_add_f64_e32 v[34:35], v[34:35], v[69:70]
	v_add_f64_e64 v[69:70], v[32:33], -v[69:70]
	s_delay_alu instid0(VALU_DEP_3) | instskip(SKIP_1) | instid1(VALU_DEP_2)
	v_fma_f64 v[65:66], v[30:31], -0.5, v[118:119]
	v_add_f64_e32 v[30:31], v[118:119], v[36:37]
	v_fma_f64 v[32:33], v[69:70], s[8:9], v[65:66]
	s_delay_alu instid0(VALU_DEP_2)
	v_add_f64_e32 v[36:37], v[30:31], v[80:81]
	v_fma_f64 v[30:31], v[82:83], s[2:3], v[63:64]
	v_fma_f64 v[63:64], v[82:83], s[8:9], v[63:64]
	v_fma_f64 v[65:66], v[69:70], s[2:3], v[65:66]
	ds_store_b128 v8, v[34:37] offset:3744
	ds_store_b128 v67, v[0:3] offset:1456
	scratch_store_b32 off, v67, off offset:496 ; 4-byte Folded Spill
	ds_store_b128 v67, v[47:50] offset:1664
	ds_store_b128 v38, v[4:7] offset:2080
	scratch_store_b32 off, v38, off offset:488 ; 4-byte Folded Spill
	ds_store_b128 v38, v[51:54] offset:2288
	ds_store_b128 v10, v[12:15] offset:2704
	v_mad_co_u64_u32 v[50:51], null, 0x60, v71, s[0:1]
	scratch_store_b32 off, v10, off offset:480 ; 4-byte Folded Spill
	ds_store_b128 v10, v[55:58] offset:2912
	ds_store_b128 v9, v[22:25] offset:3328
	scratch_store_b32 off, v9, off offset:472 ; 4-byte Folded Spill
	ds_store_b128 v9, v[59:62] offset:3536
	ds_store_b128 v8, v[30:33] offset:3952
	scratch_store_b32 off, v8, off offset:464 ; 4-byte Folded Spill
	ds_store_b128 v8, v[63:66] offset:4160
	global_wb scope:SCOPE_SE
	s_wait_storecnt_dscnt 0x0
	s_barrier_signal -1
	s_barrier_wait -1
	global_inv scope:SCOPE_SE
	s_clause 0x3
	global_load_b128 v[116:119], v[50:51], off offset:416
	global_load_b128 v[136:139], v[50:51], off offset:432
	;; [unrolled: 1-line block ×4, first 2 shown]
	ds_load_b128 v[0:3], v20 offset:624
	ds_load_b128 v[6:9], v20 offset:1664
	s_clause 0xd
	global_load_b128 v[148:151], v[50:51], off offset:1664
	global_load_b128 v[156:159], v[50:51], off offset:1680
	;; [unrolled: 1-line block ×14, first 2 shown]
	s_mov_b32 s8, 0xe976ee23
	s_mov_b32 s9, 0xbfe11646
	;; [unrolled: 1-line block ×6, first 2 shown]
	ds_load_b128 v[10:13], v20 offset:4160
	ds_load_b128 v[56:59], v20 offset:2912
	;; [unrolled: 1-line block ×3, first 2 shown]
	s_wait_loadcnt_dscnt 0x1104
	v_mul_f64_e32 v[4:5], v[2:3], v[118:119]
	s_wait_loadcnt_dscnt 0x600
	v_mul_f64_e32 v[14:15], v[22:23], v[182:183]
	s_delay_alu instid0(VALU_DEP_2) | instskip(SKIP_1) | instid1(VALU_DEP_3)
	v_fma_f64 v[52:53], v[0:1], v[116:117], -v[4:5]
	v_mul_f64_e32 v[0:1], v[0:1], v[118:119]
	v_fma_f64 v[14:15], v[24:25], v[180:181], v[14:15]
	s_delay_alu instid0(VALU_DEP_2) | instskip(SKIP_3) | instid1(VALU_DEP_1)
	v_fma_f64 v[54:55], v[2:3], v[116:117], v[0:1]
	ds_load_b128 v[0:3], v20 offset:1248
	s_wait_dscnt 0x0
	v_mul_f64_e32 v[4:5], v[2:3], v[138:139]
	v_fma_f64 v[69:70], v[0:1], v[136:137], -v[4:5]
	v_mul_f64_e32 v[0:1], v[0:1], v[138:139]
	s_delay_alu instid0(VALU_DEP_1) | instskip(SKIP_3) | instid1(VALU_DEP_1)
	v_fma_f64 v[80:81], v[2:3], v[136:137], v[0:1]
	ds_load_b128 v[0:3], v20 offset:3120
	s_wait_dscnt 0x0
	v_mul_f64_e32 v[4:5], v[2:3], v[142:143]
	v_fma_f64 v[82:83], v[0:1], v[140:141], -v[4:5]
	v_mul_f64_e32 v[0:1], v[0:1], v[142:143]
	s_delay_alu instid0(VALU_DEP_2) | instskip(NEXT) | instid1(VALU_DEP_2)
	v_add_f64_e32 v[98:99], v[69:70], v[82:83]
	v_fma_f64 v[84:85], v[2:3], v[140:141], v[0:1]
	ds_load_b128 v[0:3], v20 offset:3744
	s_wait_dscnt 0x0
	v_mul_f64_e32 v[4:5], v[2:3], v[154:155]
	v_add_f64_e32 v[202:203], v[80:81], v[84:85]
	s_delay_alu instid0(VALU_DEP_2) | instskip(SKIP_1) | instid1(VALU_DEP_2)
	v_fma_f64 v[86:87], v[0:1], v[152:153], -v[4:5]
	v_mul_f64_e32 v[0:1], v[0:1], v[154:155]
	v_add_f64_e32 v[50:51], v[52:53], v[86:87]
	s_delay_alu instid0(VALU_DEP_2) | instskip(SKIP_4) | instid1(VALU_DEP_2)
	v_fma_f64 v[88:89], v[2:3], v[152:153], v[0:1]
	ds_load_b128 v[0:3], v20 offset:832
	s_wait_dscnt 0x0
	v_mul_f64_e32 v[4:5], v[2:3], v[150:151]
	v_add_f64_e32 v[200:201], v[54:55], v[88:89]
	v_fma_f64 v[16:17], v[0:1], v[148:149], -v[4:5]
	v_mul_f64_e32 v[0:1], v[0:1], v[150:151]
	s_delay_alu instid0(VALU_DEP_1) | instskip(SKIP_3) | instid1(VALU_DEP_1)
	v_fma_f64 v[18:19], v[2:3], v[148:149], v[0:1]
	ds_load_b128 v[0:3], v20 offset:1456
	s_wait_dscnt 0x0
	v_mul_f64_e32 v[4:5], v[2:3], v[158:159]
	v_fma_f64 v[26:27], v[0:1], v[156:157], -v[4:5]
	v_mul_f64_e32 v[0:1], v[0:1], v[158:159]
	s_delay_alu instid0(VALU_DEP_1) | instskip(SKIP_3) | instid1(VALU_DEP_1)
	v_fma_f64 v[28:29], v[2:3], v[156:157], v[0:1]
	ds_load_b128 v[0:3], v20 offset:3328
	s_wait_dscnt 0x0
	v_mul_f64_e32 v[4:5], v[2:3], v[162:163]
	v_fma_f64 v[34:35], v[0:1], v[160:161], -v[4:5]
	v_mul_f64_e32 v[0:1], v[0:1], v[162:163]
	s_delay_alu instid0(VALU_DEP_2) | instskip(NEXT) | instid1(VALU_DEP_2)
	v_add_f64_e32 v[210:211], v[26:27], v[34:35]
	v_fma_f64 v[36:37], v[2:3], v[160:161], v[0:1]
	ds_load_b128 v[0:3], v20 offset:3952
	v_add_f64_e64 v[26:27], v[26:27], -v[34:35]
	s_wait_dscnt 0x0
	v_mul_f64_e32 v[4:5], v[2:3], v[166:167]
	v_add_f64_e32 v[218:219], v[28:29], v[36:37]
	v_add_f64_e64 v[28:29], v[28:29], -v[36:37]
	s_delay_alu instid0(VALU_DEP_3) | instskip(SKIP_1) | instid1(VALU_DEP_2)
	v_fma_f64 v[38:39], v[0:1], v[164:165], -v[4:5]
	v_mul_f64_e32 v[0:1], v[0:1], v[166:167]
	v_add_f64_e32 v[208:209], v[16:17], v[38:39]
	s_delay_alu instid0(VALU_DEP_2)
	v_fma_f64 v[40:41], v[2:3], v[164:165], v[0:1]
	ds_load_b128 v[2:5], v20 offset:1040
	v_add_f64_e64 v[36:37], v[16:17], -v[38:39]
	s_wait_dscnt 0x0
	v_mul_f64_e32 v[0:1], v[4:5], v[170:171]
	v_add_f64_e32 v[60:61], v[210:211], v[208:209]
	v_add_f64_e32 v[216:217], v[18:19], v[40:41]
	v_add_f64_e64 v[40:41], v[18:19], -v[40:41]
	s_delay_alu instid0(VALU_DEP_4) | instskip(SKIP_1) | instid1(VALU_DEP_1)
	v_fma_f64 v[0:1], v[2:3], v[168:169], -v[0:1]
	v_mul_f64_e32 v[2:3], v[2:3], v[170:171]
	v_fma_f64 v[2:3], v[4:5], v[168:169], v[2:3]
	v_mul_f64_e32 v[4:5], v[8:9], v[174:175]
	s_delay_alu instid0(VALU_DEP_1) | instskip(SKIP_1) | instid1(VALU_DEP_1)
	v_fma_f64 v[4:5], v[6:7], v[172:173], -v[4:5]
	v_mul_f64_e32 v[6:7], v[6:7], v[174:175]
	v_fma_f64 v[6:7], v[8:9], v[172:173], v[6:7]
	v_mul_f64_e32 v[8:9], v[12:13], v[178:179]
	s_delay_alu instid0(VALU_DEP_2) | instskip(NEXT) | instid1(VALU_DEP_2)
	v_add_f64_e32 v[250:251], v[6:7], v[14:15]
	v_fma_f64 v[8:9], v[10:11], v[176:177], -v[8:9]
	v_mul_f64_e32 v[10:11], v[10:11], v[178:179]
	v_add_f64_e64 v[6:7], v[6:7], -v[14:15]
	s_delay_alu instid0(VALU_DEP_3) | instskip(NEXT) | instid1(VALU_DEP_3)
	v_add_f64_e32 v[240:241], v[0:1], v[8:9]
	v_fma_f64 v[10:11], v[12:13], v[176:177], v[10:11]
	v_mul_f64_e32 v[12:13], v[24:25], v[182:183]
	v_add_f64_e64 v[0:1], v[0:1], -v[8:9]
	s_delay_alu instid0(VALU_DEP_3) | instskip(NEXT) | instid1(VALU_DEP_3)
	v_add_f64_e32 v[248:249], v[2:3], v[10:11]
	v_fma_f64 v[12:13], v[22:23], v[180:181], -v[12:13]
	ds_load_b128 v[22:25], v20 offset:1872
	v_add_f64_e64 v[2:3], v[2:3], -v[10:11]
	s_wait_loadcnt_dscnt 0x500
	v_mul_f64_e32 v[30:31], v[24:25], v[190:191]
	v_add_f64_e32 v[242:243], v[4:5], v[12:13]
	v_add_f64_e64 v[4:5], v[4:5], -v[12:13]
	s_delay_alu instid0(VALU_DEP_3) | instskip(SKIP_1) | instid1(VALU_DEP_4)
	v_fma_f64 v[90:91], v[22:23], v[188:189], -v[30:31]
	v_mul_f64_e32 v[22:23], v[22:23], v[190:191]
	v_add_f64_e32 v[64:65], v[242:243], v[240:241]
	v_add_f64_e64 v[10:11], v[242:243], -v[240:241]
	s_delay_alu instid0(VALU_DEP_3) | instskip(SKIP_3) | instid1(VALU_DEP_1)
	v_fma_f64 v[92:93], v[24:25], v[188:189], v[22:23]
	ds_load_b128 v[22:25], v20 offset:2496
	s_wait_loadcnt_dscnt 0x400
	v_mul_f64_e32 v[30:31], v[24:25], v[186:187]
	v_fma_f64 v[94:95], v[22:23], v[184:185], -v[30:31]
	v_mul_f64_e32 v[22:23], v[22:23], v[186:187]
	s_delay_alu instid0(VALU_DEP_2) | instskip(NEXT) | instid1(VALU_DEP_2)
	v_add_f64_e32 v[196:197], v[90:91], v[94:95]
	v_fma_f64 v[96:97], v[24:25], v[184:185], v[22:23]
	ds_load_b128 v[22:25], v20 offset:2080
	s_wait_loadcnt_dscnt 0x300
	v_mul_f64_e32 v[30:31], v[24:25], v[134:135]
	v_add_f64_e32 v[204:205], v[92:93], v[96:97]
	s_delay_alu instid0(VALU_DEP_2) | instskip(SKIP_1) | instid1(VALU_DEP_1)
	v_fma_f64 v[44:45], v[22:23], v[132:133], -v[30:31]
	v_mul_f64_e32 v[22:23], v[22:23], v[134:135]
	v_fma_f64 v[42:43], v[24:25], v[132:133], v[22:23]
	ds_load_b128 v[22:25], v20 offset:2704
	s_wait_loadcnt_dscnt 0x200
	v_mul_f64_e32 v[30:31], v[24:25], v[146:147]
	s_delay_alu instid0(VALU_DEP_1)
	v_fma_f64 v[48:49], v[22:23], v[144:145], -v[30:31]
	v_mul_f64_e32 v[22:23], v[22:23], v[146:147]
	ds_load_b128 v[30:33], v20 offset:2288
	v_add_f64_e32 v[212:213], v[44:45], v[48:49]
	v_fma_f64 v[46:47], v[24:25], v[144:145], v[22:23]
	s_wait_loadcnt_dscnt 0x100
	v_mul_f64_e32 v[22:23], v[32:33], v[126:127]
	v_add_f64_e64 v[34:35], v[48:49], -v[44:45]
	s_delay_alu instid0(VALU_DEP_4) | instskip(NEXT) | instid1(VALU_DEP_4)
	v_add_f64_e32 v[214:215], v[212:213], v[60:61]
	v_add_f64_e32 v[220:221], v[42:43], v[46:47]
	s_delay_alu instid0(VALU_DEP_4)
	v_fma_f64 v[24:25], v[30:31], v[124:125], -v[22:23]
	v_mul_f64_e32 v[22:23], v[30:31], v[126:127]
	s_wait_loadcnt 0x0
	v_mul_f64_e32 v[30:31], v[58:59], v[130:131]
	v_add_f64_e32 v[60:61], v[218:219], v[216:217]
	v_add_f64_e64 v[38:39], v[46:47], -v[42:43]
	v_add_f64_e64 v[18:19], v[34:35], -v[26:27]
	;; [unrolled: 1-line block ×4, first 2 shown]
	v_add_f64_e32 v[16:17], v[34:35], v[26:27]
	v_add_f64_e64 v[42:43], v[210:211], -v[208:209]
	v_add_f64_e64 v[48:49], v[220:221], -v[218:219]
	v_fma_f64 v[22:23], v[32:33], v[124:125], v[22:23]
	v_fma_f64 v[32:33], v[56:57], v[128:129], -v[30:31]
	v_mul_f64_e32 v[30:31], v[56:57], v[130:131]
	v_add_f64_e32 v[56:57], v[98:99], v[50:51]
	v_add_f64_e32 v[222:223], v[220:221], v[60:61]
	ds_load_b128 v[60:63], v20 offset:208
	s_wait_dscnt 0x0
	v_add_f64_e32 v[60:61], v[60:61], v[214:215]
	v_add_f64_e32 v[244:245], v[24:25], v[32:33]
	v_fma_f64 v[30:31], v[58:59], v[128:129], v[30:31]
	v_add_f64_e32 v[198:199], v[196:197], v[56:57]
	v_add_f64_e32 v[56:57], v[202:203], v[200:201]
	;; [unrolled: 1-line block ×3, first 2 shown]
	v_add_f64_e64 v[12:13], v[32:33], -v[24:25]
	v_add_f64_e32 v[246:247], v[244:245], v[64:65]
	v_add_f64_e32 v[252:253], v[22:23], v[30:31]
	;; [unrolled: 1-line block ×4, first 2 shown]
	ds_load_b128 v[56:59], v20
	v_add_f64_e64 v[8:9], v[30:31], -v[22:23]
	v_add_f64_e64 v[14:15], v[244:245], -v[242:243]
	;; [unrolled: 1-line block ×4, first 2 shown]
	v_add_f64_e32 v[30:31], v[12:13], v[4:5]
	v_add_f64_e64 v[4:5], v[4:5], -v[0:1]
	s_wait_dscnt 0x0
	v_add_f64_e32 v[56:57], v[56:57], v[198:199]
	v_add_f64_e64 v[24:25], v[252:253], -v[250:251]
	v_add_f64_e32 v[254:255], v[252:253], v[64:65]
	ds_load_b128 v[64:67], v20 offset:416
	v_add_f64_e32 v[58:59], v[58:59], v[206:207]
	s_wait_alu 0xfffe
	v_mul_f64_e32 v[32:33], s[8:9], v[32:33]
	v_add_f64_e32 v[30:31], v[30:31], v[0:1]
	v_add_f64_e64 v[0:1], v[0:1], -v[12:13]
	s_wait_dscnt 0x0
	v_add_f64_e32 v[192:193], v[64:65], v[246:247]
	v_add_f64_e64 v[64:65], v[69:70], -v[82:83]
	v_add_f64_e64 v[69:70], v[94:95], -v[90:91]
	;; [unrolled: 1-line block ×5, first 2 shown]
	v_fma_f64 v[198:199], v[198:199], s[18:19], v[56:57]
	v_add_f64_e32 v[194:195], v[66:67], v[254:255]
	v_add_f64_e64 v[66:67], v[80:81], -v[84:85]
	v_add_f64_e64 v[80:81], v[52:53], -v[86:87]
	v_add_f64_e64 v[84:85], v[54:55], -v[88:89]
	v_add_f64_e64 v[86:87], v[196:197], -v[98:99]
	v_add_f64_e64 v[88:89], v[98:99], -v[50:51]
	v_add_f64_e64 v[50:51], v[50:51], -v[196:197]
	v_add_f64_e64 v[196:197], v[200:201], -v[204:205]
	v_fma_f64 v[206:207], v[206:207], s[18:19], v[58:59]
	v_add_f64_e64 v[54:55], v[69:70], -v[64:65]
	v_add_f64_e32 v[52:53], v[69:70], v[64:65]
	v_add_f64_e64 v[96:97], v[82:83], -v[66:67]
	v_add_f64_e64 v[94:95], v[64:65], -v[80:81]
	v_add_f64_e32 v[64:65], v[82:83], v[66:67]
	v_add_f64_e64 v[69:70], v[80:81], -v[69:70]
	v_add_f64_e64 v[98:99], v[66:67], -v[84:85]
	v_mul_f64_e32 v[50:51], s[22:23], v[50:51]
	v_mul_f64_e32 v[234:235], s[8:9], v[54:55]
	v_add_f64_e32 v[202:203], v[52:53], v[80:81]
	v_mul_f64_e32 v[54:55], s[0:1], v[92:93]
	v_add_f64_e64 v[80:81], v[84:85], -v[82:83]
	v_mul_f64_e32 v[52:53], s[0:1], v[86:87]
	v_mul_f64_e32 v[96:97], s[8:9], v[96:97]
	;; [unrolled: 1-line block ×3, first 2 shown]
	v_add_f64_e32 v[232:233], v[64:65], v[84:85]
	v_mul_f64_e32 v[84:85], s[2:3], v[98:99]
	v_fma_f64 v[64:65], v[94:95], s[2:3], -v[234:235]
	v_mul_f64_e32 v[94:95], s[22:23], v[196:197]
	v_fma_f64 v[54:55], v[90:91], s[14:15], -v[54:55]
	v_fma_f64 v[52:53], v[88:89], s[14:15], -v[52:53]
	;; [unrolled: 1-line block ×3, first 2 shown]
	v_fma_f64 v[50:51], v[86:87], s[0:1], v[50:51]
	v_mul_f64_e32 v[86:87], s[8:9], v[18:19]
	v_mul_f64_e32 v[18:19], s[0:1], v[48:49]
	v_fma_f64 v[82:83], v[69:70], s[26:27], -v[82:83]
	v_fma_f64 v[69:70], v[69:70], s[20:21], v[234:235]
	v_fma_f64 v[84:85], v[80:81], s[26:27], -v[84:85]
	v_fma_f64 v[80:81], v[80:81], s[20:21], v[96:97]
	v_fma_f64 v[66:67], v[202:203], s[16:17], v[64:65]
	v_fma_f64 v[90:91], v[90:91], s[24:25], -v[94:95]
	v_add_f64_e32 v[226:227], v[54:55], v[206:207]
	v_fma_f64 v[64:65], v[98:99], s[2:3], -v[96:97]
	v_add_f64_e32 v[224:225], v[52:53], v[198:199]
	v_add_f64_e32 v[88:89], v[88:89], v[198:199]
	;; [unrolled: 1-line block ×3, first 2 shown]
	v_add_f64_e64 v[96:97], v[36:37], -v[34:35]
	v_fma_f64 v[18:19], v[46:47], s[14:15], -v[18:19]
	v_add_f64_e64 v[98:99], v[40:41], -v[38:39]
	v_fma_f64 v[82:83], v[202:203], s[16:17], v[82:83]
	v_fma_f64 v[69:70], v[202:203], s[16:17], v[69:70]
	;; [unrolled: 1-line block ×4, first 2 shown]
	v_add_f64_e32 v[90:91], v[90:91], v[206:207]
	v_add_f64_e32 v[54:55], v[66:67], v[226:227]
	v_add_f64_e64 v[66:67], v[226:227], -v[66:67]
	v_fma_f64 v[64:65], v[232:233], s[16:17], v[64:65]
	v_add_f64_e64 v[228:229], v[88:89], -v[84:85]
	v_add_f64_e32 v[232:233], v[80:81], v[50:51]
	v_add_f64_e64 v[236:237], v[50:51], -v[80:81]
	v_add_f64_e64 v[50:51], v[26:27], -v[36:37]
	v_add_f64_e32 v[26:27], v[38:39], v[28:29]
	v_add_f64_e64 v[80:81], v[28:29], -v[40:41]
	v_add_f64_e64 v[226:227], v[90:91], -v[82:83]
	v_add_f64_e32 v[230:231], v[82:83], v[90:91]
	v_fma_f64 v[82:83], v[92:93], s[0:1], v[94:95]
	v_add_f64_e64 v[52:53], v[224:225], -v[64:65]
	v_add_f64_e32 v[64:65], v[64:65], v[224:225]
	v_add_f64_e32 v[224:225], v[84:85], v[88:89]
	v_fma_f64 v[90:91], v[222:223], s[18:19], v[62:63]
	v_fma_f64 v[88:89], v[214:215], s[18:19], v[60:61]
	v_mul_f64_e32 v[34:35], s[2:3], v[50:51]
	v_add_f64_e32 v[84:85], v[26:27], v[40:41]
	v_fma_f64 v[26:27], v[50:51], s[2:3], -v[86:87]
	v_add_f64_e32 v[82:83], v[82:83], v[206:207]
	v_add_f64_e32 v[94:95], v[18:19], v[90:91]
	v_fma_f64 v[34:35], v[96:97], s[26:27], -v[34:35]
	s_delay_alu instid0(VALU_DEP_3)
	v_add_f64_e64 v[234:235], v[82:83], -v[69:70]
	v_add_f64_e32 v[238:239], v[69:70], v[82:83]
	v_add_f64_e64 v[69:70], v[38:39], -v[28:29]
	v_add_f64_e32 v[82:83], v[16:17], v[36:37]
	v_mul_f64_e32 v[16:17], s[0:1], v[44:45]
	v_mul_f64_e32 v[36:37], s[2:3], v[80:81]
	s_delay_alu instid0(VALU_DEP_4) | instskip(NEXT) | instid1(VALU_DEP_4)
	v_mul_f64_e32 v[69:70], s[8:9], v[69:70]
	v_fma_f64 v[28:29], v[82:83], s[16:17], v[26:27]
	s_delay_alu instid0(VALU_DEP_4) | instskip(NEXT) | instid1(VALU_DEP_4)
	v_fma_f64 v[16:17], v[42:43], s[14:15], -v[16:17]
	v_fma_f64 v[36:37], v[98:99], s[26:27], -v[36:37]
	s_delay_alu instid0(VALU_DEP_4) | instskip(NEXT) | instid1(VALU_DEP_4)
	v_fma_f64 v[26:27], v[80:81], s[2:3], -v[69:70]
	v_add_f64_e32 v[18:19], v[28:29], v[94:95]
	s_delay_alu instid0(VALU_DEP_4) | instskip(SKIP_3) | instid1(VALU_DEP_2)
	v_add_f64_e32 v[92:93], v[16:17], v[88:89]
	v_add_f64_e64 v[28:29], v[94:95], -v[28:29]
	v_add_f64_e64 v[94:95], v[216:217], -v[220:221]
	v_fma_f64 v[26:27], v[84:85], s[16:17], v[26:27]
	v_mul_f64_e32 v[80:81], s[22:23], v[94:95]
	s_delay_alu instid0(VALU_DEP_2) | instskip(SKIP_2) | instid1(VALU_DEP_4)
	v_add_f64_e64 v[16:17], v[92:93], -v[26:27]
	v_add_f64_e32 v[26:27], v[26:27], v[92:93]
	v_add_f64_e64 v[92:93], v[208:209], -v[212:213]
	v_fma_f64 v[40:41], v[46:47], s[24:25], -v[80:81]
	v_fma_f64 v[46:47], v[84:85], s[16:17], v[36:37]
	v_fma_f64 v[48:49], v[48:49], s[0:1], v[80:81]
	;; [unrolled: 1-line block ×3, first 2 shown]
	v_mul_f64_e32 v[50:51], s[22:23], v[92:93]
	v_add_f64_e32 v[40:41], v[40:41], v[90:91]
	s_delay_alu instid0(VALU_DEP_4) | instskip(NEXT) | instid1(VALU_DEP_3)
	v_add_f64_e32 v[48:49], v[48:49], v[90:91]
	v_fma_f64 v[38:39], v[42:43], s[24:25], -v[50:51]
	v_fma_f64 v[42:43], v[82:83], s[16:17], v[34:35]
	v_fma_f64 v[44:45], v[44:45], s[0:1], v[50:51]
	s_delay_alu instid0(VALU_DEP_3) | instskip(NEXT) | instid1(VALU_DEP_3)
	v_add_f64_e32 v[38:39], v[38:39], v[88:89]
	v_add_f64_e64 v[36:37], v[40:41], -v[42:43]
	v_add_f64_e32 v[40:41], v[42:43], v[40:41]
	v_fma_f64 v[42:43], v[96:97], s[20:21], v[86:87]
	s_delay_alu instid0(VALU_DEP_4) | instskip(SKIP_2) | instid1(VALU_DEP_4)
	v_add_f64_e32 v[34:35], v[46:47], v[38:39]
	v_add_f64_e64 v[38:39], v[38:39], -v[46:47]
	v_fma_f64 v[46:47], v[98:99], s[20:21], v[69:70]
	v_fma_f64 v[50:51], v[82:83], s[16:17], v[42:43]
	v_add_f64_e32 v[69:70], v[44:45], v[88:89]
	v_fma_f64 v[82:83], v[254:255], s[18:19], v[194:195]
	s_delay_alu instid0(VALU_DEP_4) | instskip(NEXT) | instid1(VALU_DEP_4)
	v_fma_f64 v[46:47], v[84:85], s[16:17], v[46:47]
	v_add_f64_e64 v[44:45], v[48:49], -v[50:51]
	v_add_f64_e32 v[198:199], v[50:51], v[48:49]
	v_add_f64_e64 v[48:49], v[8:9], -v[6:7]
	v_mul_f64_e32 v[50:51], s[0:1], v[14:15]
	v_fma_f64 v[84:85], v[4:5], s[2:3], -v[32:33]
	v_mul_f64_e32 v[4:5], s[2:3], v[4:5]
	v_add_f64_e32 v[42:43], v[46:47], v[69:70]
	v_add_f64_e64 v[196:197], v[69:70], -v[46:47]
	v_add_f64_e32 v[46:47], v[8:9], v[6:7]
	v_add_f64_e64 v[6:7], v[6:7], -v[2:3]
	v_mul_f64_e32 v[48:49], s[8:9], v[48:49]
	v_fma_f64 v[50:51], v[10:11], s[14:15], -v[50:51]
	v_mul_f64_e32 v[69:70], s[0:1], v[24:25]
	v_fma_f64 v[84:85], v[30:31], s[16:17], v[84:85]
	v_fma_f64 v[4:5], v[0:1], s[26:27], -v[4:5]
	v_fma_f64 v[0:1], v[0:1], s[20:21], v[32:33]
	ds_store_b128 v20, v[56:59]
	ds_store_b128 v20, v[60:63] offset:208
	ds_store_b128 v20, v[224:227] offset:1248
	;; [unrolled: 1-line block ×12, first 2 shown]
	v_add_f64_e32 v[46:47], v[46:47], v[2:3]
	v_add_f64_e64 v[2:3], v[2:3], -v[8:9]
	v_fma_f64 v[86:87], v[6:7], s[2:3], -v[48:49]
	v_add_f64_e32 v[50:51], v[50:51], v[80:81]
	v_fma_f64 v[69:70], v[22:23], s[14:15], -v[69:70]
	v_mul_f64_e32 v[6:7], s[2:3], v[6:7]
	v_fma_f64 v[4:5], v[30:31], s[16:17], v[4:5]
	v_fma_f64 v[0:1], v[30:31], s[16:17], v[0:1]
	;; [unrolled: 1-line block ×3, first 2 shown]
	v_add_f64_e32 v[69:70], v[69:70], v[82:83]
	v_fma_f64 v[6:7], v[2:3], s[26:27], -v[6:7]
	v_fma_f64 v[2:3], v[2:3], s[20:21], v[48:49]
	s_delay_alu instid0(VALU_DEP_4)
	v_add_f64_e64 v[208:209], v[50:51], -v[86:87]
	v_add_f64_e32 v[212:213], v[86:87], v[50:51]
	v_add_f64_e64 v[50:51], v[240:241], -v[244:245]
	v_add_f64_e32 v[210:211], v[84:85], v[69:70]
	v_add_f64_e64 v[214:215], v[69:70], -v[84:85]
	v_add_f64_e64 v[69:70], v[248:249], -v[252:253]
	v_fma_f64 v[6:7], v[46:47], s[16:17], v[6:7]
	v_fma_f64 v[2:3], v[46:47], s[16:17], v[2:3]
	v_mul_f64_e32 v[8:9], s[22:23], v[50:51]
	s_delay_alu instid0(VALU_DEP_4) | instskip(NEXT) | instid1(VALU_DEP_2)
	v_mul_f64_e32 v[12:13], s[22:23], v[69:70]
	v_fma_f64 v[10:11], v[10:11], s[24:25], -v[8:9]
	s_delay_alu instid0(VALU_DEP_2) | instskip(NEXT) | instid1(VALU_DEP_2)
	v_fma_f64 v[22:23], v[22:23], s[24:25], -v[12:13]
	v_add_f64_e32 v[10:11], v[10:11], v[80:81]
	s_delay_alu instid0(VALU_DEP_2) | instskip(NEXT) | instid1(VALU_DEP_2)
	v_add_f64_e32 v[22:23], v[22:23], v[82:83]
	v_add_f64_e32 v[204:205], v[6:7], v[10:11]
	v_add_f64_e64 v[220:221], v[10:11], -v[6:7]
	v_fma_f64 v[6:7], v[24:25], s[0:1], v[12:13]
	s_delay_alu instid0(VALU_DEP_4) | instskip(SKIP_3) | instid1(VALU_DEP_4)
	v_add_f64_e64 v[206:207], v[22:23], -v[4:5]
	v_add_f64_e32 v[222:223], v[4:5], v[22:23]
	v_fma_f64 v[4:5], v[14:15], s[0:1], v[8:9]
	s_add_nc_u64 s[0:1], s[12:13], 0x1110
	v_add_f64_e32 v[6:7], v[6:7], v[82:83]
	s_delay_alu instid0(VALU_DEP_2) | instskip(NEXT) | instid1(VALU_DEP_2)
	v_add_f64_e32 v[4:5], v[4:5], v[80:81]
	v_add_f64_e64 v[202:203], v[6:7], -v[0:1]
	v_add_f64_e32 v[218:219], v[0:1], v[6:7]
	scratch_load_b32 v0, off, off offset:12 th:TH_LOAD_LU ; 4-byte Folded Reload
	v_add_f64_e32 v[200:201], v[2:3], v[4:5]
	v_add_f64_e64 v[216:217], v[4:5], -v[2:3]
	s_wait_loadcnt 0x0
	v_lshl_add_u32 v69, v0, 4, v21
	ds_store_b128 v20, v[192:195] offset:416
	ds_store_b128 v20, v[196:199] offset:3952
	;; [unrolled: 1-line block ×8, first 2 shown]
	global_wb scope:SCOPE_SE
	s_wait_dscnt 0x0
	s_barrier_signal -1
	s_barrier_wait -1
	global_inv scope:SCOPE_SE
	scratch_load_b64 v[0:1], off, off offset:4 ; 8-byte Folded Reload
	ds_load_b128 v[4:7], v20
	ds_load_b128 v[16:19], v20 offset:672
	ds_load_b128 v[32:35], v20 offset:1344
	;; [unrolled: 1-line block ×10, first 2 shown]
	global_load_b128 v[22:25], v21, s[0:1] offset:1008
	ds_load_b128 v[26:29], v20 offset:1008
	s_wait_loadcnt 0x1
	global_load_b128 v[0:3], v[0:1], off offset:4368
	s_wait_loadcnt_dscnt 0xb
	v_mul_f64_e32 v[8:9], v[6:7], v[2:3]
	v_mul_f64_e32 v[10:11], v[4:5], v[2:3]
	s_delay_alu instid0(VALU_DEP_2) | instskip(NEXT) | instid1(VALU_DEP_2)
	v_fma_f64 v[2:3], v[4:5], v[0:1], -v[8:9]
	v_fma_f64 v[4:5], v[6:7], v[0:1], v[10:11]
	global_load_b128 v[6:9], v21, s[0:1] offset:336
	ds_load_b128 v[10:13], v20 offset:336
	s_wait_loadcnt_dscnt 0x0
	v_mul_f64_e32 v[0:1], v[12:13], v[8:9]
	v_mul_f64_e32 v[14:15], v[10:11], v[8:9]
	s_delay_alu instid0(VALU_DEP_2) | instskip(NEXT) | instid1(VALU_DEP_2)
	v_fma_f64 v[8:9], v[10:11], v[6:7], -v[0:1]
	v_fma_f64 v[10:11], v[12:13], v[6:7], v[14:15]
	global_load_b128 v[12:15], v21, s[0:1] offset:672
	s_wait_loadcnt 0x0
	v_mul_f64_e32 v[0:1], v[18:19], v[14:15]
	v_mul_f64_e32 v[6:7], v[16:17], v[14:15]
	s_delay_alu instid0(VALU_DEP_2) | instskip(NEXT) | instid1(VALU_DEP_2)
	v_fma_f64 v[14:15], v[16:17], v[12:13], -v[0:1]
	v_fma_f64 v[16:17], v[18:19], v[12:13], v[6:7]
	v_mul_f64_e32 v[0:1], v[28:29], v[24:25]
	v_mul_f64_e32 v[6:7], v[26:27], v[24:25]
	s_delay_alu instid0(VALU_DEP_2) | instskip(NEXT) | instid1(VALU_DEP_2)
	v_fma_f64 v[24:25], v[26:27], v[22:23], -v[0:1]
	v_fma_f64 v[26:27], v[28:29], v[22:23], v[6:7]
	global_load_b128 v[28:31], v21, s[0:1] offset:1344
	s_wait_loadcnt 0x0
	v_mul_f64_e32 v[0:1], v[34:35], v[30:31]
	v_mul_f64_e32 v[6:7], v[32:33], v[30:31]
	s_delay_alu instid0(VALU_DEP_2) | instskip(NEXT) | instid1(VALU_DEP_2)
	v_fma_f64 v[30:31], v[32:33], v[28:29], -v[0:1]
	v_fma_f64 v[32:33], v[34:35], v[28:29], v[6:7]
	global_load_b128 v[34:37], v21, s[0:1] offset:1680
	s_wait_loadcnt 0x0
	;; [unrolled: 7-line block ×9, first 2 shown]
	v_mul_f64_e32 v[0:1], v[234:235], v[66:67]
	v_mul_f64_e32 v[6:7], v[232:233], v[66:67]
	s_delay_alu instid0(VALU_DEP_2) | instskip(NEXT) | instid1(VALU_DEP_2)
	v_fma_f64 v[232:233], v[232:233], v[64:65], -v[0:1]
	v_fma_f64 v[234:235], v[234:235], v[64:65], v[6:7]
	ds_store_b128 v20, v[2:5]
	ds_store_b128 v20, v[8:11] offset:336
	ds_store_b128 v20, v[14:17] offset:672
	;; [unrolled: 1-line block ×12, first 2 shown]
	s_and_saveexec_b32 s2, vcc_lo
	s_cbranch_execz .LBB0_9
; %bb.8:
	s_wait_alu 0xfffe
	v_add_co_u32 v63, s0, s0, v21
	s_wait_alu 0xf1ff
	v_add_co_ci_u32_e64 v64, null, s1, 0, s0
	s_clause 0x5
	global_load_b128 v[0:3], v[63:64], off offset:208
	global_load_b128 v[4:7], v[63:64], off offset:544
	;; [unrolled: 1-line block ×6, first 2 shown]
	ds_load_b128 v[21:24], v20 offset:208
	ds_load_b128 v[41:44], v20 offset:2896
	;; [unrolled: 1-line block ×6, first 2 shown]
	s_wait_loadcnt_dscnt 0x505
	v_mul_f64_e32 v[29:30], v[23:24], v[2:3]
	v_mul_f64_e32 v[2:3], v[21:22], v[2:3]
	s_delay_alu instid0(VALU_DEP_2) | instskip(NEXT) | instid1(VALU_DEP_2)
	v_fma_f64 v[21:22], v[21:22], v[0:1], -v[29:30]
	v_fma_f64 v[23:24], v[23:24], v[0:1], v[2:3]
	ds_load_b128 v[0:3], v20 offset:544
	s_wait_loadcnt_dscnt 0x400
	v_mul_f64_e32 v[29:30], v[2:3], v[6:7]
	v_mul_f64_e32 v[6:7], v[0:1], v[6:7]
	s_delay_alu instid0(VALU_DEP_2) | instskip(NEXT) | instid1(VALU_DEP_2)
	v_fma_f64 v[0:1], v[0:1], v[4:5], -v[29:30]
	v_fma_f64 v[2:3], v[2:3], v[4:5], v[6:7]
	ds_load_b128 v[4:7], v20 offset:880
	;; [unrolled: 7-line block ×5, first 2 shown]
	s_wait_loadcnt_dscnt 0x0
	v_mul_f64_e32 v[29:30], v[18:19], v[27:28]
	v_mul_f64_e32 v[27:28], v[16:17], v[27:28]
	s_delay_alu instid0(VALU_DEP_2) | instskip(NEXT) | instid1(VALU_DEP_2)
	v_fma_f64 v[16:17], v[16:17], v[25:26], -v[29:30]
	v_fma_f64 v[18:19], v[18:19], v[25:26], v[27:28]
	global_load_b128 v[25:28], v[63:64], off offset:2224
	ds_load_b128 v[29:32], v20 offset:2224
	s_wait_loadcnt_dscnt 0x0
	v_mul_f64_e32 v[33:34], v[31:32], v[27:28]
	v_mul_f64_e32 v[35:36], v[29:30], v[27:28]
	s_delay_alu instid0(VALU_DEP_2) | instskip(NEXT) | instid1(VALU_DEP_2)
	v_fma_f64 v[27:28], v[29:30], v[25:26], -v[33:34]
	v_fma_f64 v[29:30], v[31:32], v[25:26], v[35:36]
	global_load_b128 v[31:34], v[63:64], off offset:2560
	ds_load_b128 v[35:38], v20 offset:2560
	s_wait_loadcnt_dscnt 0x0
	v_mul_f64_e32 v[25:26], v[37:38], v[33:34]
	v_mul_f64_e32 v[39:40], v[35:36], v[33:34]
	s_delay_alu instid0(VALU_DEP_2) | instskip(NEXT) | instid1(VALU_DEP_2)
	v_fma_f64 v[33:34], v[35:36], v[31:32], -v[25:26]
	v_fma_f64 v[35:36], v[37:38], v[31:32], v[39:40]
	global_load_b128 v[37:40], v[63:64], off offset:2896
	s_wait_loadcnt 0x0
	v_mul_f64_e32 v[25:26], v[43:44], v[39:40]
	v_mul_f64_e32 v[31:32], v[41:42], v[39:40]
	s_delay_alu instid0(VALU_DEP_2) | instskip(NEXT) | instid1(VALU_DEP_2)
	v_fma_f64 v[39:40], v[41:42], v[37:38], -v[25:26]
	v_fma_f64 v[41:42], v[43:44], v[37:38], v[31:32]
	global_load_b128 v[43:46], v[63:64], off offset:3232
	s_wait_loadcnt 0x0
	;; [unrolled: 7-line block ×5, first 2 shown]
	v_mul_f64_e32 v[25:26], v[226:227], v[63:64]
	v_mul_f64_e32 v[31:32], v[224:225], v[63:64]
	s_delay_alu instid0(VALU_DEP_2) | instskip(NEXT) | instid1(VALU_DEP_2)
	v_fma_f64 v[63:64], v[224:225], v[61:62], -v[25:26]
	v_fma_f64 v[65:66], v[226:227], v[61:62], v[31:32]
	ds_store_b128 v20, v[21:24] offset:208
	ds_store_b128 v20, v[0:3] offset:544
	;; [unrolled: 1-line block ×13, first 2 shown]
.LBB0_9:
	s_wait_alu 0xfffe
	s_or_b32 exec_lo, exec_lo, s2
	global_wb scope:SCOPE_SE
	s_wait_dscnt 0x0
	s_barrier_signal -1
	s_barrier_wait -1
	global_inv scope:SCOPE_SE
	ds_load_b128 v[224:227], v20
	ds_load_b128 v[228:231], v20 offset:336
	ds_load_b128 v[232:235], v20 offset:672
	;; [unrolled: 1-line block ×12, first 2 shown]
	s_and_saveexec_b32 s0, vcc_lo
	s_cbranch_execz .LBB0_11
; %bb.10:
	s_clause 0x1
	scratch_load_b32 v21, off, off
	scratch_load_b32 v22, off, off offset:312
	s_wait_loadcnt 0x0
	v_lshl_add_u32 v21, v21, 4, v22
	ds_load_b128 v[192:195], v21 offset:544
	ds_load_b128 v[200:203], v21 offset:880
	;; [unrolled: 1-line block ×9, first 2 shown]
	s_wait_dscnt 0x1
	scratch_store_b128 off, v[22:25], off offset:80 ; 16-byte Folded Spill
	ds_load_b128 v[22:25], v21 offset:3232
	s_wait_dscnt 0x0
	scratch_store_b128 off, v[22:25], off offset:64 ; 16-byte Folded Spill
	ds_load_b128 v[22:25], v21 offset:3568
	;; [unrolled: 3-line block ×4, first 2 shown]
	s_wait_dscnt 0x0
	scratch_store_b128 off, v[21:24], off offset:16 ; 16-byte Folded Spill
.LBB0_11:
	s_wait_alu 0xfffe
	s_or_b32 exec_lo, exec_lo, s0
	s_wait_dscnt 0xb
	v_add_f64_e32 v[21:22], v[224:225], v[228:229]
	v_add_f64_e32 v[23:24], v[226:227], v[230:231]
	s_wait_dscnt 0x5
	v_add_f64_e32 v[32:33], v[18:19], v[14:15]
	v_add_f64_e64 v[34:35], v[18:19], -v[14:15]
	s_wait_dscnt 0x4
	v_add_f64_e32 v[50:51], v[6:7], v[10:11]
	v_add_f64_e64 v[54:55], v[6:7], -v[10:11]
	s_mov_b32 s42, 0x4267c47c
	s_mov_b32 s24, 0x42a4c3d2
	;; [unrolled: 1-line block ×12, first 2 shown]
	s_wait_dscnt 0x3
	v_add_f64_e32 v[56:57], v[254:255], v[2:3]
	v_add_f64_e64 v[58:59], v[254:255], -v[2:3]
	s_wait_dscnt 0x0
	v_add_f64_e32 v[28:29], v[230:231], v[238:239]
	s_mov_b32 s26, 0xe00740e9
	s_mov_b32 s16, 0x1ea71119
	;; [unrolled: 1-line block ×12, first 2 shown]
	v_add_f64_e64 v[30:31], v[228:229], -v[236:237]
	s_mov_b32 s41, 0x3fcea1e5
	s_wait_alu 0xfffe
	s_mov_b32 s40, s12
	v_add_f64_e64 v[60:61], v[242:243], -v[250:251]
	v_add_f64_e32 v[62:63], v[234:235], v[246:247]
	v_add_f64_e32 v[21:22], v[21:22], v[232:233]
	;; [unrolled: 1-line block ×3, first 2 shown]
	s_mov_b32 s29, 0x3fddbe06
	s_mov_b32 s28, s42
	;; [unrolled: 1-line block ×10, first 2 shown]
	s_wait_alu 0xfffe
	v_mul_f64_e32 v[108:109], s[30:31], v[54:55]
	v_mul_f64_e32 v[112:113], s[28:29], v[34:35]
	global_wb scope:SCOPE_SE
	s_wait_storecnt 0x0
	s_barrier_signal -1
	s_barrier_wait -1
	global_inv scope:SCOPE_SE
	v_mul_f64_e32 v[80:81], s[16:17], v[28:29]
	v_mul_f64_e32 v[82:83], s[14:15], v[28:29]
	;; [unrolled: 1-line block ×4, first 2 shown]
	v_add_f64_e32 v[21:22], v[21:22], v[240:241]
	v_add_f64_e32 v[23:24], v[23:24], v[242:243]
	v_fma_f64 v[90:91], v[30:31], s[38:39], v[80:81]
	v_fma_f64 v[80:81], v[30:31], s[24:25], v[80:81]
	;; [unrolled: 1-line block ×8, first 2 shown]
	v_add_f64_e32 v[21:22], v[21:22], v[252:253]
	v_add_f64_e32 v[23:24], v[23:24], v[254:255]
	;; [unrolled: 1-line block ×9, first 2 shown]
	s_delay_alu instid0(VALU_DEP_2) | instskip(NEXT) | instid1(VALU_DEP_2)
	v_add_f64_e32 v[24:25], v[21:22], v[16:17]
	v_add_f64_e32 v[26:27], v[26:27], v[18:19]
	;; [unrolled: 1-line block ×3, first 2 shown]
	v_add_f64_e64 v[16:17], v[16:17], -v[12:13]
	s_delay_alu instid0(VALU_DEP_4) | instskip(NEXT) | instid1(VALU_DEP_4)
	v_add_f64_e32 v[18:19], v[24:25], v[12:13]
	v_add_f64_e32 v[24:25], v[26:27], v[14:15]
	;; [unrolled: 1-line block ×3, first 2 shown]
	v_add_f64_e64 v[14:15], v[4:5], -v[8:9]
	v_add_f64_e64 v[26:27], v[232:233], -v[244:245]
	v_fma_f64 v[114:115], v[22:23], s[26:27], v[112:113]
	v_add_f64_e32 v[4:5], v[18:19], v[8:9]
	v_add_f64_e32 v[6:7], v[24:25], v[10:11]
	;; [unrolled: 1-line block ×3, first 2 shown]
	v_add_f64_e64 v[10:11], v[252:253], -v[0:1]
	v_add_f64_e32 v[24:25], v[232:233], v[244:245]
	v_add_f64_e64 v[232:233], v[234:235], -v[246:247]
	v_add_f64_e32 v[18:19], v[240:241], v[248:249]
	;; [unrolled: 2-line block ×3, first 2 shown]
	v_add_f64_e32 v[234:235], v[226:227], v[86:87]
	v_mul_f64_e32 v[86:87], s[8:9], v[62:63]
	v_fma_f64 v[110:111], v[12:13], s[14:15], v[108:109]
	v_add_f64_e32 v[0:1], v[4:5], v[0:1]
	v_add_f64_e64 v[4:5], v[230:231], -v[238:239]
	v_add_f64_e32 v[2:3], v[6:7], v[2:3]
	v_add_f64_e32 v[6:7], v[228:229], v[236:237]
	s_delay_alu instid0(VALU_DEP_4) | instskip(NEXT) | instid1(VALU_DEP_4)
	v_add_f64_e32 v[0:1], v[0:1], v[248:249]
	v_mul_f64_e32 v[36:37], s[42:43], v[4:5]
	v_mul_f64_e32 v[38:39], s[24:25], v[4:5]
	;; [unrolled: 1-line block ×6, first 2 shown]
	v_add_f64_e32 v[2:3], v[2:3], v[250:251]
	v_add_f64_e32 v[0:1], v[0:1], v[244:245]
	v_fma_f64 v[46:47], v[6:7], s[26:27], v[36:37]
	v_fma_f64 v[36:37], v[6:7], s[26:27], -v[36:37]
	v_fma_f64 v[48:49], v[6:7], s[16:17], v[38:39]
	v_fma_f64 v[38:39], v[6:7], s[16:17], -v[38:39]
	;; [unrolled: 2-line block ×6, first 2 shown]
	v_mul_f64_e32 v[6:7], s[26:27], v[28:29]
	v_mul_f64_e32 v[28:29], s[0:1], v[28:29]
	v_add_f64_e32 v[2:3], v[2:3], v[246:247]
	v_add_f64_e32 v[244:245], v[226:227], v[84:85]
	;; [unrolled: 1-line block ×6, first 2 shown]
	v_mul_f64_e32 v[38:39], s[16:17], v[62:63]
	v_add_f64_e32 v[102:103], v[224:225], v[40:41]
	v_mul_f64_e32 v[40:41], s[22:23], v[60:61]
	v_add_f64_e32 v[246:247], v[224:225], v[42:43]
	v_add_f64_e32 v[100:101], v[224:225], v[52:53]
	;; [unrolled: 1-line block ×5, first 2 shown]
	v_fma_f64 v[88:89], v[30:31], s[28:29], v[6:7]
	v_fma_f64 v[98:99], v[30:31], s[40:41], v[28:29]
	v_fma_f64 v[248:249], v[30:31], s[12:13], v[28:29]
	v_add_f64_e32 v[28:29], v[224:225], v[36:37]
	v_mul_f64_e32 v[36:37], s[24:25], v[232:233]
	v_fma_f64 v[6:7], v[30:31], s[42:43], v[6:7]
	v_add_f64_e32 v[230:231], v[224:225], v[70:71]
	v_add_f64_e32 v[2:3], v[2:3], v[238:239]
	;; [unrolled: 1-line block ×4, first 2 shown]
	v_fma_f64 v[42:43], v[18:19], s[14:15], v[40:41]
	v_add_f64_e32 v[88:89], v[226:227], v[88:89]
	v_add_f64_e32 v[66:67], v[226:227], v[98:99]
	;; [unrolled: 1-line block ×3, first 2 shown]
	v_fma_f64 v[4:5], v[24:25], s[16:17], v[36:37]
	v_add_f64_e32 v[30:31], v[226:227], v[6:7]
	v_fma_f64 v[6:7], v[26:27], s[38:39], v[38:39]
	s_delay_alu instid0(VALU_DEP_3) | instskip(NEXT) | instid1(VALU_DEP_2)
	v_add_f64_e32 v[4:5], v[4:5], v[46:47]
	v_add_f64_e32 v[6:7], v[6:7], v[88:89]
	v_fma_f64 v[88:89], v[26:27], s[36:37], v[86:87]
	v_fma_f64 v[86:87], v[26:27], s[20:21], v[86:87]
	s_delay_alu instid0(VALU_DEP_4) | instskip(SKIP_1) | instid1(VALU_DEP_4)
	v_add_f64_e32 v[4:5], v[42:43], v[4:5]
	v_mul_f64_e32 v[42:43], s[14:15], v[252:253]
	v_add_f64_e32 v[88:89], v[88:89], v[90:91]
	v_mul_f64_e32 v[90:91], s[12:13], v[60:61]
	v_add_f64_e32 v[80:81], v[86:87], v[80:81]
	s_delay_alu instid0(VALU_DEP_4) | instskip(NEXT) | instid1(VALU_DEP_3)
	v_fma_f64 v[44:45], v[240:241], s[30:31], v[42:43]
	v_fma_f64 v[96:97], v[18:19], s[0:1], v[90:91]
	v_fma_f64 v[86:87], v[18:19], s[0:1], -v[90:91]
	v_mul_f64_e32 v[90:91], s[0:1], v[62:63]
	s_delay_alu instid0(VALU_DEP_4) | instskip(SKIP_1) | instid1(VALU_DEP_1)
	v_add_f64_e32 v[6:7], v[44:45], v[6:7]
	v_mul_f64_e32 v[44:45], s[20:21], v[58:59]
	v_fma_f64 v[46:47], v[8:9], s[8:9], v[44:45]
	s_delay_alu instid0(VALU_DEP_1) | instskip(SKIP_1) | instid1(VALU_DEP_1)
	v_add_f64_e32 v[4:5], v[46:47], v[4:5]
	v_mul_f64_e32 v[46:47], s[8:9], v[56:57]
	v_fma_f64 v[48:49], v[10:11], s[36:37], v[46:47]
	s_delay_alu instid0(VALU_DEP_1) | instskip(SKIP_1) | instid1(VALU_DEP_1)
	;; [unrolled: 4-line block ×6, first 2 shown]
	v_add_f64_e32 v[6:7], v[82:83], v[6:7]
	v_mul_f64_e32 v[82:83], s[20:21], v[232:233]
	v_fma_f64 v[84:85], v[24:25], s[8:9], v[82:83]
	v_fma_f64 v[82:83], v[24:25], s[8:9], -v[82:83]
	s_delay_alu instid0(VALU_DEP_2) | instskip(NEXT) | instid1(VALU_DEP_2)
	v_add_f64_e32 v[84:85], v[84:85], v[250:251]
	v_add_f64_e32 v[82:83], v[82:83], v[254:255]
	s_delay_alu instid0(VALU_DEP_2) | instskip(SKIP_1) | instid1(VALU_DEP_3)
	v_add_f64_e32 v[84:85], v[96:97], v[84:85]
	v_mul_f64_e32 v[96:97], s[0:1], v[252:253]
	v_add_f64_e32 v[82:83], v[86:87], v[82:83]
	s_delay_alu instid0(VALU_DEP_2) | instskip(SKIP_1) | instid1(VALU_DEP_2)
	v_fma_f64 v[98:99], v[240:241], s[40:41], v[96:97]
	v_fma_f64 v[86:87], v[240:241], s[12:13], v[96:97]
	v_add_f64_e32 v[88:89], v[98:99], v[88:89]
	v_mul_f64_e32 v[98:99], s[34:35], v[58:59]
	s_delay_alu instid0(VALU_DEP_3) | instskip(NEXT) | instid1(VALU_DEP_2)
	v_add_f64_e32 v[80:81], v[86:87], v[80:81]
	v_fma_f64 v[226:227], v[8:9], s[2:3], v[98:99]
	v_fma_f64 v[86:87], v[8:9], s[2:3], -v[98:99]
	s_delay_alu instid0(VALU_DEP_2) | instskip(SKIP_1) | instid1(VALU_DEP_3)
	v_add_f64_e32 v[84:85], v[226:227], v[84:85]
	v_mul_f64_e32 v[226:227], s[2:3], v[56:57]
	v_add_f64_e32 v[82:83], v[86:87], v[82:83]
	s_delay_alu instid0(VALU_DEP_3) | instskip(NEXT) | instid1(VALU_DEP_3)
	v_add_f64_e32 v[84:85], v[110:111], v[84:85]
	v_fma_f64 v[248:249], v[10:11], s[18:19], v[226:227]
	v_mul_f64_e32 v[110:111], s[14:15], v[50:51]
	v_fma_f64 v[86:87], v[10:11], s[34:35], v[226:227]
	s_delay_alu instid0(VALU_DEP_3) | instskip(NEXT) | instid1(VALU_DEP_3)
	v_add_f64_e32 v[88:89], v[248:249], v[88:89]
	v_fma_f64 v[248:249], v[14:15], s[22:23], v[110:111]
	s_delay_alu instid0(VALU_DEP_3) | instskip(SKIP_1) | instid1(VALU_DEP_3)
	v_add_f64_e32 v[80:81], v[86:87], v[80:81]
	v_fma_f64 v[86:87], v[12:13], s[14:15], -v[108:109]
	v_add_f64_e32 v[88:89], v[248:249], v[88:89]
	v_add_f64_e32 v[248:249], v[114:115], v[84:85]
	v_mul_f64_e32 v[84:85], s[26:27], v[32:33]
	s_delay_alu instid0(VALU_DEP_4) | instskip(SKIP_1) | instid1(VALU_DEP_3)
	v_add_f64_e32 v[82:83], v[86:87], v[82:83]
	v_fma_f64 v[86:87], v[14:15], s[30:31], v[110:111]
	v_fma_f64 v[114:115], v[16:17], s[42:43], v[84:85]
	;; [unrolled: 1-line block ×3, first 2 shown]
	s_delay_alu instid0(VALU_DEP_3) | instskip(SKIP_1) | instid1(VALU_DEP_4)
	v_add_f64_e32 v[86:87], v[86:87], v[80:81]
	v_fma_f64 v[80:81], v[22:23], s[26:27], -v[112:113]
	v_add_f64_e32 v[250:251], v[114:115], v[88:89]
	v_mul_f64_e32 v[88:89], s[12:13], v[232:233]
	s_delay_alu instid0(VALU_DEP_3)
	v_add_f64_e32 v[80:81], v[80:81], v[82:83]
	v_add_f64_e32 v[82:83], v[84:85], v[86:87]
	v_fma_f64 v[86:87], v[26:27], s[40:41], v[90:91]
	v_fma_f64 v[90:91], v[26:27], s[12:13], v[90:91]
	;; [unrolled: 1-line block ×3, first 2 shown]
	v_fma_f64 v[88:89], v[24:25], s[0:1], -v[88:89]
	s_delay_alu instid0(VALU_DEP_4) | instskip(SKIP_4) | instid1(VALU_DEP_4)
	v_add_f64_e32 v[86:87], v[86:87], v[92:93]
	v_mul_f64_e32 v[92:93], s[36:37], v[60:61]
	v_add_f64_e32 v[90:91], v[90:91], v[104:105]
	v_add_f64_e32 v[84:85], v[84:85], v[100:101]
	;; [unrolled: 1-line block ×3, first 2 shown]
	v_fma_f64 v[96:97], v[18:19], s[8:9], v[92:93]
	v_fma_f64 v[92:93], v[18:19], s[8:9], -v[92:93]
	s_delay_alu instid0(VALU_DEP_2) | instskip(SKIP_1) | instid1(VALU_DEP_3)
	v_add_f64_e32 v[84:85], v[96:97], v[84:85]
	v_mul_f64_e32 v[96:97], s[8:9], v[252:253]
	v_add_f64_e32 v[88:89], v[92:93], v[88:89]
	s_delay_alu instid0(VALU_DEP_2) | instskip(SKIP_1) | instid1(VALU_DEP_2)
	v_fma_f64 v[98:99], v[240:241], s[20:21], v[96:97]
	v_fma_f64 v[92:93], v[240:241], s[36:37], v[96:97]
	v_add_f64_e32 v[86:87], v[98:99], v[86:87]
	v_mul_f64_e32 v[98:99], s[28:29], v[58:59]
	s_delay_alu instid0(VALU_DEP_3) | instskip(NEXT) | instid1(VALU_DEP_2)
	v_add_f64_e32 v[90:91], v[92:93], v[90:91]
	v_fma_f64 v[100:101], v[8:9], s[26:27], v[98:99]
	v_fma_f64 v[92:93], v[8:9], s[26:27], -v[98:99]
	v_mul_f64_e32 v[98:99], s[2:3], v[62:63]
	s_delay_alu instid0(VALU_DEP_3) | instskip(SKIP_1) | instid1(VALU_DEP_4)
	v_add_f64_e32 v[84:85], v[100:101], v[84:85]
	v_mul_f64_e32 v[100:101], s[26:27], v[56:57]
	v_add_f64_e32 v[88:89], v[92:93], v[88:89]
	s_delay_alu instid0(VALU_DEP_2) | instskip(SKIP_3) | instid1(VALU_DEP_4)
	v_fma_f64 v[108:109], v[10:11], s[42:43], v[100:101]
	v_fma_f64 v[92:93], v[10:11], s[28:29], v[100:101]
	v_fma_f64 v[100:101], v[26:27], s[18:19], v[98:99]
	v_fma_f64 v[98:99], v[26:27], s[34:35], v[98:99]
	v_add_f64_e32 v[86:87], v[108:109], v[86:87]
	v_mul_f64_e32 v[108:109], s[24:25], v[54:55]
	v_add_f64_e32 v[90:91], v[92:93], v[90:91]
	v_add_f64_e32 v[94:95], v[100:101], v[94:95]
	v_mul_f64_e32 v[100:101], s[28:29], v[60:61]
	v_add_f64_e32 v[98:99], v[98:99], v[244:245]
	v_fma_f64 v[110:111], v[12:13], s[16:17], v[108:109]
	v_fma_f64 v[92:93], v[12:13], s[16:17], -v[108:109]
	s_delay_alu instid0(VALU_DEP_4) | instskip(SKIP_1) | instid1(VALU_DEP_4)
	v_fma_f64 v[102:103], v[18:19], s[26:27], v[100:101]
	v_fma_f64 v[100:101], v[18:19], s[26:27], -v[100:101]
	v_add_f64_e32 v[84:85], v[110:111], v[84:85]
	v_mul_f64_e32 v[110:111], s[16:17], v[50:51]
	v_add_f64_e32 v[88:89], v[92:93], v[88:89]
	s_delay_alu instid0(VALU_DEP_2) | instskip(SKIP_1) | instid1(VALU_DEP_2)
	v_fma_f64 v[112:113], v[14:15], s[38:39], v[110:111]
	v_fma_f64 v[92:93], v[14:15], s[24:25], v[110:111]
	v_add_f64_e32 v[86:87], v[112:113], v[86:87]
	v_mul_f64_e32 v[112:113], s[18:19], v[34:35]
	s_delay_alu instid0(VALU_DEP_3) | instskip(NEXT) | instid1(VALU_DEP_2)
	v_add_f64_e32 v[90:91], v[92:93], v[90:91]
	v_fma_f64 v[114:115], v[22:23], s[2:3], v[112:113]
	v_fma_f64 v[92:93], v[22:23], s[2:3], -v[112:113]
	s_delay_alu instid0(VALU_DEP_2) | instskip(SKIP_1) | instid1(VALU_DEP_3)
	v_add_f64_e32 v[84:85], v[114:115], v[84:85]
	v_mul_f64_e32 v[114:115], s[2:3], v[32:33]
	v_add_f64_e32 v[88:89], v[92:93], v[88:89]
	s_delay_alu instid0(VALU_DEP_2) | instskip(SKIP_1) | instid1(VALU_DEP_2)
	v_fma_f64 v[96:97], v[16:17], s[18:19], v[114:115]
	v_fma_f64 v[226:227], v[16:17], s[34:35], v[114:115]
	v_add_f64_e32 v[90:91], v[96:97], v[90:91]
	v_mul_f64_e32 v[96:97], s[34:35], v[232:233]
	s_delay_alu instid0(VALU_DEP_3) | instskip(NEXT) | instid1(VALU_DEP_2)
	v_add_f64_e32 v[86:87], v[226:227], v[86:87]
	v_fma_f64 v[92:93], v[24:25], s[2:3], v[96:97]
	v_fma_f64 v[96:97], v[24:25], s[2:3], -v[96:97]
	s_delay_alu instid0(VALU_DEP_2) | instskip(NEXT) | instid1(VALU_DEP_2)
	v_add_f64_e32 v[92:93], v[92:93], v[106:107]
	v_add_f64_e32 v[96:97], v[96:97], v[246:247]
	s_delay_alu instid0(VALU_DEP_2) | instskip(SKIP_1) | instid1(VALU_DEP_3)
	v_add_f64_e32 v[92:93], v[102:103], v[92:93]
	v_mul_f64_e32 v[102:103], s[26:27], v[252:253]
	v_add_f64_e32 v[96:97], v[100:101], v[96:97]
	s_delay_alu instid0(VALU_DEP_2) | instskip(SKIP_1) | instid1(VALU_DEP_2)
	v_fma_f64 v[104:105], v[240:241], s[42:43], v[102:103]
	v_fma_f64 v[100:101], v[240:241], s[28:29], v[102:103]
	v_add_f64_e32 v[94:95], v[104:105], v[94:95]
	v_mul_f64_e32 v[104:105], s[22:23], v[58:59]
	s_delay_alu instid0(VALU_DEP_3) | instskip(NEXT) | instid1(VALU_DEP_2)
	v_add_f64_e32 v[98:99], v[100:101], v[98:99]
	v_fma_f64 v[106:107], v[8:9], s[14:15], v[104:105]
	v_fma_f64 v[100:101], v[8:9], s[14:15], -v[104:105]
	v_mul_f64_e32 v[104:105], s[24:25], v[60:61]
	v_mul_f64_e32 v[60:61], s[18:19], v[60:61]
	s_delay_alu instid0(VALU_DEP_4) | instskip(SKIP_2) | instid1(VALU_DEP_2)
	v_add_f64_e32 v[92:93], v[106:107], v[92:93]
	v_mul_f64_e32 v[106:107], s[14:15], v[56:57]
	v_add_f64_e32 v[96:97], v[100:101], v[96:97]
	v_fma_f64 v[108:109], v[10:11], s[30:31], v[106:107]
	v_fma_f64 v[100:101], v[10:11], s[22:23], v[106:107]
	;; [unrolled: 1-line block ×3, first 2 shown]
	v_fma_f64 v[104:105], v[18:19], s[16:17], -v[104:105]
	s_delay_alu instid0(VALU_DEP_4) | instskip(SKIP_2) | instid1(VALU_DEP_2)
	v_add_f64_e32 v[94:95], v[108:109], v[94:95]
	v_mul_f64_e32 v[108:109], s[40:41], v[54:55]
	v_add_f64_e32 v[98:99], v[100:101], v[98:99]
	v_fma_f64 v[110:111], v[12:13], s[0:1], v[108:109]
	v_fma_f64 v[100:101], v[12:13], s[0:1], -v[108:109]
	s_delay_alu instid0(VALU_DEP_2) | instskip(SKIP_1) | instid1(VALU_DEP_3)
	v_add_f64_e32 v[92:93], v[110:111], v[92:93]
	v_mul_f64_e32 v[110:111], s[0:1], v[50:51]
	v_add_f64_e32 v[96:97], v[100:101], v[96:97]
	s_delay_alu instid0(VALU_DEP_2) | instskip(SKIP_1) | instid1(VALU_DEP_2)
	v_fma_f64 v[112:113], v[14:15], s[12:13], v[110:111]
	v_fma_f64 v[100:101], v[14:15], s[40:41], v[110:111]
	v_add_f64_e32 v[94:95], v[112:113], v[94:95]
	v_mul_f64_e32 v[112:113], s[38:39], v[34:35]
	s_delay_alu instid0(VALU_DEP_3) | instskip(NEXT) | instid1(VALU_DEP_2)
	v_add_f64_e32 v[98:99], v[100:101], v[98:99]
	v_fma_f64 v[114:115], v[22:23], s[16:17], v[112:113]
	v_fma_f64 v[100:101], v[22:23], s[16:17], -v[112:113]
	s_delay_alu instid0(VALU_DEP_2) | instskip(SKIP_1) | instid1(VALU_DEP_3)
	v_add_f64_e32 v[92:93], v[114:115], v[92:93]
	v_mul_f64_e32 v[114:115], s[16:17], v[32:33]
	v_add_f64_e32 v[244:245], v[100:101], v[96:97]
	v_mul_f64_e32 v[100:101], s[30:31], v[232:233]
	s_delay_alu instid0(VALU_DEP_3) | instskip(SKIP_1) | instid1(VALU_DEP_3)
	v_fma_f64 v[102:103], v[16:17], s[38:39], v[114:115]
	v_fma_f64 v[226:227], v[16:17], s[24:25], v[114:115]
	;; [unrolled: 1-line block ×3, first 2 shown]
	v_fma_f64 v[100:101], v[24:25], s[14:15], -v[100:101]
	s_delay_alu instid0(VALU_DEP_4) | instskip(SKIP_1) | instid1(VALU_DEP_4)
	v_add_f64_e32 v[246:247], v[102:103], v[98:99]
	v_mul_f64_e32 v[102:103], s[14:15], v[62:63]
	v_add_f64_e32 v[96:97], v[96:97], v[242:243]
	s_delay_alu instid0(VALU_DEP_4)
	v_add_f64_e32 v[100:101], v[100:101], v[236:237]
	v_add_f64_e32 v[94:95], v[226:227], v[94:95]
	v_mul_f64_e32 v[62:63], s[26:27], v[62:63]
	v_fma_f64 v[98:99], v[26:27], s[22:23], v[102:103]
	v_add_f64_e32 v[96:97], v[106:107], v[96:97]
	v_mul_f64_e32 v[106:107], s[16:17], v[252:253]
	v_fma_f64 v[102:103], v[26:27], s[30:31], v[102:103]
	v_add_f64_e32 v[100:101], v[104:105], v[100:101]
	v_add_f64_e32 v[98:99], v[98:99], v[238:239]
	s_delay_alu instid0(VALU_DEP_4) | instskip(NEXT) | instid1(VALU_DEP_4)
	v_fma_f64 v[108:109], v[240:241], s[38:39], v[106:107]
	v_add_f64_e32 v[102:103], v[102:103], v[234:235]
	v_fma_f64 v[104:105], v[240:241], s[24:25], v[106:107]
	s_delay_alu instid0(VALU_DEP_3) | instskip(SKIP_1) | instid1(VALU_DEP_3)
	v_add_f64_e32 v[98:99], v[108:109], v[98:99]
	v_mul_f64_e32 v[108:109], s[40:41], v[58:59]
	v_add_f64_e32 v[102:103], v[104:105], v[102:103]
	v_mul_f64_e32 v[58:59], s[38:39], v[58:59]
	s_delay_alu instid0(VALU_DEP_3) | instskip(SKIP_2) | instid1(VALU_DEP_3)
	v_fma_f64 v[110:111], v[8:9], s[0:1], v[108:109]
	v_fma_f64 v[104:105], v[8:9], s[0:1], -v[108:109]
	v_mul_f64_e32 v[108:109], s[14:15], v[32:33]
	v_add_f64_e32 v[96:97], v[110:111], v[96:97]
	v_mul_f64_e32 v[110:111], s[0:1], v[56:57]
	s_delay_alu instid0(VALU_DEP_4) | instskip(SKIP_1) | instid1(VALU_DEP_3)
	v_add_f64_e32 v[100:101], v[104:105], v[100:101]
	v_mul_f64_e32 v[56:57], s[16:17], v[56:57]
	v_fma_f64 v[112:113], v[10:11], s[12:13], v[110:111]
	v_fma_f64 v[104:105], v[10:11], s[40:41], v[110:111]
	s_delay_alu instid0(VALU_DEP_2) | instskip(SKIP_1) | instid1(VALU_DEP_3)
	v_add_f64_e32 v[98:99], v[112:113], v[98:99]
	v_mul_f64_e32 v[112:113], s[28:29], v[54:55]
	v_add_f64_e32 v[102:103], v[104:105], v[102:103]
	v_mul_f64_e32 v[54:55], s[20:21], v[54:55]
	s_delay_alu instid0(VALU_DEP_3) | instskip(SKIP_1) | instid1(VALU_DEP_2)
	v_fma_f64 v[114:115], v[12:13], s[26:27], v[112:113]
	v_fma_f64 v[104:105], v[12:13], s[26:27], -v[112:113]
	v_add_f64_e32 v[96:97], v[114:115], v[96:97]
	v_mul_f64_e32 v[114:115], s[26:27], v[50:51]
	s_delay_alu instid0(VALU_DEP_3) | instskip(SKIP_1) | instid1(VALU_DEP_3)
	v_add_f64_e32 v[100:101], v[104:105], v[100:101]
	v_mul_f64_e32 v[50:51], s[8:9], v[50:51]
	v_fma_f64 v[226:227], v[14:15], s[42:43], v[114:115]
	v_fma_f64 v[104:105], v[14:15], s[28:29], v[114:115]
	s_delay_alu instid0(VALU_DEP_2) | instskip(SKIP_1) | instid1(VALU_DEP_3)
	v_add_f64_e32 v[98:99], v[226:227], v[98:99]
	v_mul_f64_e32 v[226:227], s[20:21], v[34:35]
	v_add_f64_e32 v[102:103], v[104:105], v[102:103]
	s_delay_alu instid0(VALU_DEP_2) | instskip(SKIP_1) | instid1(VALU_DEP_2)
	v_fma_f64 v[238:239], v[22:23], s[8:9], v[226:227]
	v_fma_f64 v[104:105], v[22:23], s[8:9], -v[226:227]
	v_add_f64_e32 v[96:97], v[238:239], v[96:97]
	v_mul_f64_e32 v[238:239], s[8:9], v[32:33]
	s_delay_alu instid0(VALU_DEP_3)
	v_add_f64_e32 v[234:235], v[104:105], v[100:101]
	v_mul_f64_e32 v[100:101], s[28:29], v[232:233]
	v_fma_f64 v[104:105], v[26:27], s[42:43], v[62:63]
	v_fma_f64 v[62:63], v[26:27], s[28:29], v[62:63]
	;; [unrolled: 1-line block ×5, first 2 shown]
	v_add_f64_e32 v[66:67], v[104:105], v[66:67]
	v_fma_f64 v[104:105], v[18:19], s[2:3], v[60:61]
	v_fma_f64 v[60:61], v[18:19], s[2:3], -v[60:61]
	v_add_f64_e32 v[62:63], v[62:63], v[224:225]
	v_add_f64_e32 v[26:27], v[26:27], v[30:31]
	v_fma_f64 v[18:19], v[18:19], s[14:15], -v[40:41]
	v_add_f64_e32 v[236:237], v[106:107], v[102:103]
	v_fma_f64 v[102:103], v[24:25], s[26:27], v[100:101]
	v_add_f64_e32 v[98:99], v[242:243], v[98:99]
	ds_store_b128 v68, v[4:7] offset:16
	ds_store_b128 v68, v[248:251] offset:32
	;; [unrolled: 1-line block ×5, first 2 shown]
	v_add_f64_e32 v[102:103], v[102:103], v[230:231]
	s_delay_alu instid0(VALU_DEP_1) | instskip(SKIP_1) | instid1(VALU_DEP_1)
	v_add_f64_e32 v[102:103], v[104:105], v[102:103]
	v_mul_f64_e32 v[104:105], s[2:3], v[252:253]
	v_fma_f64 v[106:107], v[240:241], s[34:35], v[104:105]
	s_delay_alu instid0(VALU_DEP_1) | instskip(SKIP_3) | instid1(VALU_DEP_3)
	v_add_f64_e32 v[66:67], v[106:107], v[66:67]
	v_fma_f64 v[106:107], v[8:9], s[16:17], v[58:59]
	v_fma_f64 v[58:59], v[8:9], s[16:17], -v[58:59]
	v_fma_f64 v[8:9], v[8:9], s[8:9], -v[44:45]
	v_add_f64_e32 v[102:103], v[106:107], v[102:103]
	v_fma_f64 v[106:107], v[10:11], s[24:25], v[56:57]
	v_fma_f64 v[56:57], v[10:11], s[38:39], v[56:57]
	;; [unrolled: 1-line block ×3, first 2 shown]
	s_delay_alu instid0(VALU_DEP_3) | instskip(SKIP_3) | instid1(VALU_DEP_3)
	v_add_f64_e32 v[66:67], v[106:107], v[66:67]
	v_fma_f64 v[106:107], v[12:13], s[8:9], v[54:55]
	v_fma_f64 v[54:55], v[12:13], s[8:9], -v[54:55]
	v_fma_f64 v[12:13], v[12:13], s[2:3], -v[48:49]
	v_add_f64_e32 v[102:103], v[106:107], v[102:103]
	v_fma_f64 v[106:107], v[14:15], s[36:37], v[50:51]
	v_fma_f64 v[50:51], v[14:15], s[20:21], v[50:51]
	;; [unrolled: 1-line block ×3, first 2 shown]
	s_delay_alu instid0(VALU_DEP_3) | instskip(SKIP_2) | instid1(VALU_DEP_2)
	v_add_f64_e32 v[66:67], v[106:107], v[66:67]
	v_mul_f64_e32 v[106:107], s[30:31], v[34:35]
	v_fma_f64 v[34:35], v[16:17], s[22:23], v[108:109]
	v_fma_f64 v[32:33], v[22:23], s[14:15], v[106:107]
	s_delay_alu instid0(VALU_DEP_2) | instskip(SKIP_2) | instid1(VALU_DEP_4)
	v_add_f64_e32 v[34:35], v[34:35], v[66:67]
	v_fma_f64 v[66:67], v[24:25], s[26:27], -v[100:101]
	v_fma_f64 v[24:25], v[24:25], s[16:17], -v[36:37]
	v_add_f64_e32 v[32:33], v[32:33], v[102:103]
	s_delay_alu instid0(VALU_DEP_3) | instskip(NEXT) | instid1(VALU_DEP_3)
	v_add_f64_e32 v[66:67], v[66:67], v[228:229]
	v_add_f64_e32 v[24:25], v[24:25], v[28:29]
	v_fma_f64 v[28:29], v[240:241], s[22:23], v[42:43]
	s_delay_alu instid0(VALU_DEP_3) | instskip(SKIP_1) | instid1(VALU_DEP_4)
	v_add_f64_e32 v[60:61], v[60:61], v[66:67]
	v_fma_f64 v[66:67], v[240:241], s[18:19], v[104:105]
	v_add_f64_e32 v[18:19], v[18:19], v[24:25]
	s_delay_alu instid0(VALU_DEP_4) | instskip(NEXT) | instid1(VALU_DEP_4)
	v_add_f64_e32 v[24:25], v[28:29], v[26:27]
	v_add_f64_e32 v[58:59], v[58:59], v[60:61]
	s_delay_alu instid0(VALU_DEP_4) | instskip(NEXT) | instid1(VALU_DEP_4)
	v_add_f64_e32 v[62:63], v[66:67], v[62:63]
	;; [unrolled: 3-line block ×3, first 2 shown]
	v_add_f64_e32 v[54:55], v[54:55], v[58:59]
	s_delay_alu instid0(VALU_DEP_4)
	v_add_f64_e32 v[56:57], v[56:57], v[62:63]
	v_fma_f64 v[58:59], v[16:17], s[30:31], v[108:109]
	v_add_f64_e32 v[8:9], v[12:13], v[8:9]
	v_add_f64_e32 v[10:11], v[14:15], v[10:11]
	v_fma_f64 v[12:13], v[22:23], s[0:1], -v[64:65]
	v_fma_f64 v[14:15], v[16:17], s[12:13], v[70:71]
	v_add_nc_u32_e32 v16, 0x1a0, v69
	v_add_f64_e32 v[50:51], v[50:51], v[56:57]
	v_fma_f64 v[56:57], v[22:23], s[14:15], -v[106:107]
	v_add_f64_e32 v[8:9], v[12:13], v[8:9]
	v_add_f64_e32 v[10:11], v[14:15], v[10:11]
	s_delay_alu instid0(VALU_DEP_3)
	v_add_f64_e32 v[54:55], v[56:57], v[54:55]
	v_add_f64_e32 v[56:57], v[58:59], v[50:51]
	ds_store_b128 v68, v[32:35] offset:96
	ds_store_b128 v68, v[54:57] offset:112
	ds_store_b128 v68, v[0:3]
	ds_store_b128 v68, v[234:237] offset:128
	ds_store_b128 v68, v[244:247] offset:144
	;; [unrolled: 1-line block ×5, first 2 shown]
	s_and_saveexec_b32 s33, vcc_lo
	s_cbranch_execz .LBB0_13
; %bb.12:
	scratch_load_b128 v[23:26], off, off offset:80 th:TH_LOAD_LU ; 16-byte Folded Reload
	v_add_f64_e32 v[0:1], v[198:199], v[194:195]
	v_add_f64_e32 v[2:3], v[196:197], v[192:193]
	v_add_f64_e64 v[4:5], v[220:221], -v[216:217]
	v_add_f64_e64 v[6:7], v[222:223], -v[218:219]
	scratch_load_b128 v[33:36], off, off offset:16 th:TH_LOAD_LU ; 16-byte Folded Reload
	v_add_f64_e32 v[0:1], v[0:1], v[202:203]
	v_add_f64_e32 v[2:3], v[2:3], v[200:201]
	s_delay_alu instid0(VALU_DEP_2) | instskip(NEXT) | instid1(VALU_DEP_2)
	v_add_f64_e32 v[0:1], v[0:1], v[206:207]
	v_add_f64_e32 v[2:3], v[2:3], v[204:205]
	s_delay_alu instid0(VALU_DEP_2) | instskip(NEXT) | instid1(VALU_DEP_2)
	;; [unrolled: 3-line block ×4, first 2 shown]
	v_add_f64_e32 v[8:9], v[0:1], v[222:223]
	v_add_f64_e32 v[10:11], v[2:3], v[220:221]
	v_add_f64_e32 v[0:1], v[222:223], v[218:219]
	v_add_f64_e32 v[2:3], v[220:221], v[216:217]
	s_delay_alu instid0(VALU_DEP_4) | instskip(NEXT) | instid1(VALU_DEP_4)
	v_add_f64_e32 v[17:18], v[8:9], v[218:219]
	v_add_f64_e32 v[21:22], v[10:11], v[216:217]
	s_wait_loadcnt 0x1
	v_add_f64_e64 v[12:13], v[212:213], -v[23:24]
	v_add_f64_e32 v[8:9], v[214:215], v[25:26]
	v_add_f64_e32 v[10:11], v[212:213], v[23:24]
	v_add_f64_e64 v[14:15], v[214:215], -v[25:26]
	v_add_f64_e32 v[17:18], v[17:18], v[25:26]
	v_add_f64_e32 v[21:22], v[21:22], v[23:24]
	scratch_load_b128 v[23:26], off, off offset:64 th:TH_LOAD_LU ; 16-byte Folded Reload
	s_wait_loadcnt 0x1
	v_add_f64_e32 v[27:28], v[194:195], v[35:36]
	v_add_f64_e32 v[29:30], v[192:193], v[33:34]
	v_add_f64_e64 v[31:32], v[194:195], -v[35:36]
	s_delay_alu instid0(VALU_DEP_1) | instskip(SKIP_3) | instid1(VALU_DEP_4)
	v_mul_f64_e32 v[53:54], s[18:19], v[31:32]
	v_mul_f64_e32 v[55:56], s[20:21], v[31:32]
	;; [unrolled: 1-line block ×4, first 2 shown]
	v_fma_f64 v[63:64], v[29:30], s[2:3], -v[53:54]
	v_fma_f64 v[53:54], v[29:30], s[2:3], v[53:54]
	v_fma_f64 v[98:99], v[29:30], s[8:9], -v[55:56]
	v_fma_f64 v[55:56], v[29:30], s[8:9], v[55:56]
	v_fma_f64 v[100:101], v[29:30], s[14:15], -v[57:58]
	v_fma_f64 v[57:58], v[29:30], s[14:15], v[57:58]
	v_fma_f64 v[102:103], v[29:30], s[16:17], -v[59:60]
	v_fma_f64 v[59:60], v[29:30], s[16:17], v[59:60]
	v_add_f64_e32 v[63:64], v[196:197], v[63:64]
	v_add_f64_e32 v[53:54], v[196:197], v[53:54]
	;; [unrolled: 1-line block ×8, first 2 shown]
	v_mul_f64_e32 v[59:60], s[30:31], v[6:7]
	s_wait_loadcnt 0x0
	v_add_f64_e64 v[65:66], v[208:209], -v[23:24]
	v_add_f64_e32 v[67:68], v[210:211], v[25:26]
	v_add_f64_e32 v[69:70], v[208:209], v[23:24]
	v_add_f64_e64 v[80:81], v[210:211], -v[25:26]
	v_add_f64_e32 v[17:18], v[17:18], v[25:26]
	v_add_f64_e32 v[21:22], v[21:22], v[23:24]
	scratch_load_b128 v[23:26], off, off offset:48 th:TH_LOAD_LU ; 16-byte Folded Reload
	s_wait_loadcnt 0x0
	v_add_f64_e64 v[82:83], v[204:205], -v[23:24]
	v_add_f64_e32 v[84:85], v[206:207], v[25:26]
	v_add_f64_e32 v[86:87], v[204:205], v[23:24]
	v_add_f64_e64 v[88:89], v[206:207], -v[25:26]
	v_add_f64_e32 v[17:18], v[17:18], v[25:26]
	v_add_f64_e32 v[21:22], v[21:22], v[23:24]
	scratch_load_b128 v[23:26], off, off offset:32 th:TH_LOAD_LU ; 16-byte Folded Reload
	s_wait_loadcnt 0x0
	v_add_f64_e32 v[92:93], v[202:203], v[25:26]
	v_add_f64_e64 v[96:97], v[202:203], -v[25:26]
	v_add_f64_e32 v[17:18], v[17:18], v[25:26]
	v_add_f64_e32 v[21:22], v[21:22], v[23:24]
	v_add_f64_e64 v[25:26], v[192:193], -v[33:34]
	v_add_f64_e64 v[90:91], v[200:201], -v[23:24]
	v_add_f64_e32 v[94:95], v[200:201], v[23:24]
	v_add_f64_e32 v[23:24], v[17:18], v[35:36]
	;; [unrolled: 1-line block ×3, first 2 shown]
	v_mul_f64_e32 v[17:18], s[12:13], v[25:26]
	v_mul_f64_e32 v[33:34], s[18:19], v[25:26]
	;; [unrolled: 1-line block ×6, first 2 shown]
	v_fma_f64 v[41:42], v[27:28], s[0:1], v[17:18]
	v_fma_f64 v[17:18], v[27:28], s[0:1], -v[17:18]
	v_fma_f64 v[43:44], v[27:28], s[2:3], v[33:34]
	v_fma_f64 v[33:34], v[27:28], s[2:3], -v[33:34]
	;; [unrolled: 2-line block ×6, first 2 shown]
	v_mul_f64_e32 v[27:28], s[12:13], v[31:32]
	v_mul_f64_e32 v[31:32], s[42:43], v[31:32]
	v_add_f64_e32 v[17:18], v[198:199], v[17:18]
	v_add_f64_e32 v[43:44], v[198:199], v[43:44]
	;; [unrolled: 1-line block ×10, first 2 shown]
	v_mul_f64_e32 v[33:34], s[18:19], v[82:83]
	v_fma_f64 v[61:62], v[29:30], s[0:1], -v[27:28]
	v_fma_f64 v[27:28], v[29:30], s[0:1], v[27:28]
	v_fma_f64 v[104:105], v[29:30], s[26:27], -v[31:32]
	v_fma_f64 v[29:30], v[29:30], s[26:27], v[31:32]
	v_add_f64_e32 v[31:32], v[198:199], v[41:42]
	v_add_f64_e32 v[198:199], v[198:199], v[25:26]
	v_mul_f64_e32 v[51:52], s[30:31], v[4:5]
	v_fma_f64 v[35:36], v[84:85], s[2:3], v[33:34]
	v_add_f64_e32 v[41:42], v[196:197], v[61:62]
	v_add_f64_e32 v[61:62], v[196:197], v[27:28]
	;; [unrolled: 1-line block ×4, first 2 shown]
	v_mul_f64_e32 v[29:30], s[28:29], v[90:91]
	s_delay_alu instid0(VALU_DEP_1) | instskip(SKIP_1) | instid1(VALU_DEP_2)
	v_fma_f64 v[25:26], v[92:93], s[26:27], v[29:30]
	v_fma_f64 v[29:30], v[92:93], s[26:27], -v[29:30]
	v_add_f64_e32 v[25:26], v[25:26], v[31:32]
	v_mul_f64_e32 v[31:32], s[28:29], v[96:97]
	s_delay_alu instid0(VALU_DEP_3) | instskip(NEXT) | instid1(VALU_DEP_3)
	v_add_f64_e32 v[17:18], v[29:30], v[17:18]
	v_add_f64_e32 v[25:26], v[35:36], v[25:26]
	s_delay_alu instid0(VALU_DEP_3)
	v_fma_f64 v[27:28], v[94:95], s[26:27], -v[31:32]
	v_mul_f64_e32 v[35:36], s[18:19], v[88:89]
	v_fma_f64 v[29:30], v[94:95], s[26:27], v[31:32]
	v_fma_f64 v[31:32], v[84:85], s[2:3], -v[33:34]
	v_fma_f64 v[33:34], v[2:3], s[14:15], v[59:60]
	v_add_f64_e32 v[27:28], v[27:28], v[41:42]
	v_fma_f64 v[37:38], v[86:87], s[2:3], -v[35:36]
	v_add_f64_e32 v[29:30], v[29:30], v[61:62]
	v_add_f64_e32 v[17:18], v[31:32], v[17:18]
	v_fma_f64 v[31:32], v[86:87], s[2:3], v[35:36]
	v_mul_f64_e32 v[61:62], s[20:21], v[4:5]
	v_add_f64_e32 v[27:28], v[37:38], v[27:28]
	v_mul_f64_e32 v[37:38], s[38:39], v[65:66]
	s_delay_alu instid0(VALU_DEP_4) | instskip(NEXT) | instid1(VALU_DEP_2)
	v_add_f64_e32 v[29:30], v[31:32], v[29:30]
	v_fma_f64 v[39:40], v[67:68], s[16:17], v[37:38]
	v_fma_f64 v[31:32], v[67:68], s[16:17], -v[37:38]
	v_mul_f64_e32 v[37:38], s[30:31], v[96:97]
	s_delay_alu instid0(VALU_DEP_3) | instskip(SKIP_1) | instid1(VALU_DEP_4)
	v_add_f64_e32 v[25:26], v[39:40], v[25:26]
	v_mul_f64_e32 v[39:40], s[38:39], v[80:81]
	v_add_f64_e32 v[17:18], v[31:32], v[17:18]
	s_delay_alu instid0(VALU_DEP_4) | instskip(SKIP_1) | instid1(VALU_DEP_4)
	v_fma_f64 v[35:36], v[94:95], s[14:15], -v[37:38]
	v_fma_f64 v[37:38], v[94:95], s[14:15], v[37:38]
	v_fma_f64 v[41:42], v[69:70], s[16:17], -v[39:40]
	v_fma_f64 v[31:32], v[69:70], s[16:17], v[39:40]
	v_mul_f64_e32 v[39:40], s[24:25], v[82:83]
	v_add_f64_e32 v[35:36], v[35:36], v[63:64]
	v_add_f64_e32 v[37:38], v[37:38], v[53:54]
	v_mul_f64_e32 v[63:64], s[20:21], v[6:7]
	v_add_f64_e32 v[27:28], v[41:42], v[27:28]
	v_mul_f64_e32 v[41:42], s[20:21], v[12:13]
	v_add_f64_e32 v[29:30], v[31:32], v[29:30]
	s_delay_alu instid0(VALU_DEP_2) | instskip(SKIP_3) | instid1(VALU_DEP_4)
	v_fma_f64 v[47:48], v[8:9], s[8:9], v[41:42]
	v_fma_f64 v[31:32], v[8:9], s[8:9], -v[41:42]
	v_fma_f64 v[41:42], v[84:85], s[16:17], v[39:40]
	v_fma_f64 v[39:40], v[84:85], s[16:17], -v[39:40]
	v_add_f64_e32 v[25:26], v[47:48], v[25:26]
	v_mul_f64_e32 v[47:48], s[20:21], v[14:15]
	v_add_f64_e32 v[17:18], v[31:32], v[17:18]
	s_delay_alu instid0(VALU_DEP_2) | instskip(SKIP_1) | instid1(VALU_DEP_2)
	v_fma_f64 v[31:32], v[10:11], s[8:9], v[47:48]
	v_fma_f64 v[49:50], v[10:11], s[8:9], -v[47:48]
	v_add_f64_e32 v[29:30], v[31:32], v[29:30]
	v_fma_f64 v[31:32], v[0:1], s[14:15], -v[51:52]
	s_delay_alu instid0(VALU_DEP_3) | instskip(SKIP_1) | instid1(VALU_DEP_4)
	v_add_f64_e32 v[49:50], v[49:50], v[27:28]
	v_fma_f64 v[27:28], v[0:1], s[14:15], v[51:52]
	v_add_f64_e32 v[29:30], v[33:34], v[29:30]
	s_delay_alu instid0(VALU_DEP_4) | instskip(SKIP_1) | instid1(VALU_DEP_4)
	v_add_f64_e32 v[31:32], v[31:32], v[17:18]
	v_mul_f64_e32 v[17:18], s[30:31], v[90:91]
	v_add_f64_e32 v[27:28], v[27:28], v[25:26]
	v_fma_f64 v[25:26], v[2:3], s[14:15], -v[59:60]
	s_delay_alu instid0(VALU_DEP_3) | instskip(SKIP_1) | instid1(VALU_DEP_3)
	v_fma_f64 v[33:34], v[92:93], s[14:15], v[17:18]
	v_fma_f64 v[17:18], v[92:93], s[14:15], -v[17:18]
	v_add_f64_e32 v[25:26], v[25:26], v[49:50]
	s_delay_alu instid0(VALU_DEP_3) | instskip(NEXT) | instid1(VALU_DEP_3)
	v_add_f64_e32 v[33:34], v[33:34], v[43:44]
	v_add_f64_e32 v[17:18], v[17:18], v[106:107]
	v_mul_f64_e32 v[106:107], s[38:39], v[6:7]
	s_delay_alu instid0(VALU_DEP_3) | instskip(SKIP_1) | instid1(VALU_DEP_4)
	v_add_f64_e32 v[33:34], v[41:42], v[33:34]
	v_mul_f64_e32 v[41:42], s[24:25], v[88:89]
	v_add_f64_e32 v[17:18], v[39:40], v[17:18]
	s_delay_alu instid0(VALU_DEP_2) | instskip(SKIP_2) | instid1(VALU_DEP_3)
	v_fma_f64 v[43:44], v[86:87], s[16:17], -v[41:42]
	v_fma_f64 v[39:40], v[86:87], s[16:17], v[41:42]
	v_fma_f64 v[41:42], v[2:3], s[8:9], v[63:64]
	v_add_f64_e32 v[35:36], v[43:44], v[35:36]
	v_mul_f64_e32 v[43:44], s[40:41], v[65:66]
	s_delay_alu instid0(VALU_DEP_4) | instskip(NEXT) | instid1(VALU_DEP_2)
	v_add_f64_e32 v[37:38], v[39:40], v[37:38]
	v_fma_f64 v[47:48], v[67:68], s[0:1], v[43:44]
	v_fma_f64 v[39:40], v[67:68], s[0:1], -v[43:44]
	s_delay_alu instid0(VALU_DEP_2) | instskip(SKIP_1) | instid1(VALU_DEP_3)
	v_add_f64_e32 v[33:34], v[47:48], v[33:34]
	v_mul_f64_e32 v[47:48], s[40:41], v[80:81]
	v_add_f64_e32 v[17:18], v[39:40], v[17:18]
	s_delay_alu instid0(VALU_DEP_2) | instskip(SKIP_2) | instid1(VALU_DEP_3)
	v_fma_f64 v[49:50], v[69:70], s[0:1], -v[47:48]
	v_fma_f64 v[39:40], v[69:70], s[0:1], v[47:48]
	v_mul_f64_e32 v[47:48], s[28:29], v[82:83]
	v_add_f64_e32 v[35:36], v[49:50], v[35:36]
	v_mul_f64_e32 v[49:50], s[28:29], v[12:13]
	s_delay_alu instid0(VALU_DEP_4) | instskip(NEXT) | instid1(VALU_DEP_2)
	v_add_f64_e32 v[37:38], v[39:40], v[37:38]
	v_fma_f64 v[51:52], v[8:9], s[26:27], v[49:50]
	v_fma_f64 v[39:40], v[8:9], s[26:27], -v[49:50]
	v_fma_f64 v[49:50], v[84:85], s[26:27], v[47:48]
	v_fma_f64 v[47:48], v[84:85], s[26:27], -v[47:48]
	s_delay_alu instid0(VALU_DEP_4) | instskip(SKIP_2) | instid1(VALU_DEP_2)
	v_add_f64_e32 v[33:34], v[51:52], v[33:34]
	v_mul_f64_e32 v[51:52], s[28:29], v[14:15]
	v_add_f64_e32 v[17:18], v[39:40], v[17:18]
	v_fma_f64 v[39:40], v[10:11], s[26:27], v[51:52]
	v_fma_f64 v[59:60], v[10:11], s[26:27], -v[51:52]
	s_delay_alu instid0(VALU_DEP_2) | instskip(SKIP_1) | instid1(VALU_DEP_3)
	v_add_f64_e32 v[37:38], v[39:40], v[37:38]
	v_fma_f64 v[39:40], v[0:1], s[8:9], -v[61:62]
	v_add_f64_e32 v[59:60], v[59:60], v[35:36]
	v_fma_f64 v[35:36], v[0:1], s[8:9], v[61:62]
	s_delay_alu instid0(VALU_DEP_4) | instskip(NEXT) | instid1(VALU_DEP_4)
	v_add_f64_e32 v[37:38], v[41:42], v[37:38]
	v_add_f64_e32 v[39:40], v[39:40], v[17:18]
	v_mul_f64_e32 v[17:18], s[34:35], v[90:91]
	s_delay_alu instid0(VALU_DEP_4) | instskip(SKIP_1) | instid1(VALU_DEP_3)
	v_add_f64_e32 v[35:36], v[35:36], v[33:34]
	v_fma_f64 v[33:34], v[2:3], s[8:9], -v[63:64]
	v_fma_f64 v[41:42], v[92:93], s[2:3], v[17:18]
	v_fma_f64 v[17:18], v[92:93], s[2:3], -v[17:18]
	s_delay_alu instid0(VALU_DEP_3) | instskip(NEXT) | instid1(VALU_DEP_3)
	v_add_f64_e32 v[33:34], v[33:34], v[59:60]
	v_add_f64_e32 v[41:42], v[41:42], v[45:46]
	v_mul_f64_e32 v[45:46], s[34:35], v[96:97]
	s_delay_alu instid0(VALU_DEP_4) | instskip(SKIP_1) | instid1(VALU_DEP_4)
	v_add_f64_e32 v[17:18], v[17:18], v[108:109]
	v_mul_f64_e32 v[108:109], s[18:19], v[4:5]
	v_add_f64_e32 v[41:42], v[49:50], v[41:42]
	s_delay_alu instid0(VALU_DEP_4) | instskip(SKIP_3) | instid1(VALU_DEP_4)
	v_fma_f64 v[43:44], v[94:95], s[2:3], -v[45:46]
	v_mul_f64_e32 v[49:50], s[28:29], v[88:89]
	v_fma_f64 v[45:46], v[94:95], s[2:3], v[45:46]
	v_add_f64_e32 v[17:18], v[47:48], v[17:18]
	v_add_f64_e32 v[43:44], v[43:44], v[98:99]
	s_delay_alu instid0(VALU_DEP_4) | instskip(NEXT) | instid1(VALU_DEP_4)
	v_fma_f64 v[51:52], v[86:87], s[26:27], -v[49:50]
	v_add_f64_e32 v[45:46], v[45:46], v[55:56]
	v_fma_f64 v[47:48], v[86:87], s[26:27], v[49:50]
	v_mul_f64_e32 v[98:99], s[38:39], v[4:5]
	v_fma_f64 v[49:50], v[2:3], s[16:17], v[106:107]
	v_mul_f64_e32 v[55:56], s[36:37], v[82:83]
	v_add_f64_e32 v[43:44], v[51:52], v[43:44]
	v_mul_f64_e32 v[51:52], s[22:23], v[65:66]
	v_add_f64_e32 v[45:46], v[47:48], v[45:46]
	s_delay_alu instid0(VALU_DEP_2) | instskip(SKIP_1) | instid1(VALU_DEP_2)
	v_fma_f64 v[53:54], v[67:68], s[14:15], v[51:52]
	v_fma_f64 v[47:48], v[67:68], s[14:15], -v[51:52]
	v_add_f64_e32 v[41:42], v[53:54], v[41:42]
	v_mul_f64_e32 v[53:54], s[22:23], v[80:81]
	s_delay_alu instid0(VALU_DEP_3) | instskip(NEXT) | instid1(VALU_DEP_2)
	v_add_f64_e32 v[17:18], v[47:48], v[17:18]
	v_fma_f64 v[59:60], v[69:70], s[14:15], -v[53:54]
	v_fma_f64 v[47:48], v[69:70], s[14:15], v[53:54]
	v_mul_f64_e32 v[53:54], s[12:13], v[96:97]
	s_delay_alu instid0(VALU_DEP_3) | instskip(SKIP_1) | instid1(VALU_DEP_4)
	v_add_f64_e32 v[43:44], v[59:60], v[43:44]
	v_mul_f64_e32 v[59:60], s[40:41], v[12:13]
	v_add_f64_e32 v[45:46], v[47:48], v[45:46]
	s_delay_alu instid0(VALU_DEP_4) | instskip(SKIP_1) | instid1(VALU_DEP_4)
	v_fma_f64 v[51:52], v[94:95], s[0:1], -v[53:54]
	v_fma_f64 v[53:54], v[94:95], s[0:1], v[53:54]
	v_fma_f64 v[61:62], v[8:9], s[0:1], v[59:60]
	v_fma_f64 v[47:48], v[8:9], s[0:1], -v[59:60]
	v_fma_f64 v[59:60], v[84:85], s[8:9], v[55:56]
	v_add_f64_e32 v[51:52], v[51:52], v[100:101]
	v_fma_f64 v[55:56], v[84:85], s[8:9], -v[55:56]
	v_add_f64_e32 v[53:54], v[53:54], v[57:58]
	v_add_f64_e32 v[41:42], v[61:62], v[41:42]
	v_mul_f64_e32 v[61:62], s[40:41], v[14:15]
	v_add_f64_e32 v[17:18], v[47:48], v[17:18]
	s_delay_alu instid0(VALU_DEP_2) | instskip(SKIP_1) | instid1(VALU_DEP_2)
	v_fma_f64 v[47:48], v[10:11], s[0:1], v[61:62]
	v_fma_f64 v[63:64], v[10:11], s[0:1], -v[61:62]
	v_add_f64_e32 v[45:46], v[47:48], v[45:46]
	v_fma_f64 v[47:48], v[0:1], s[16:17], -v[98:99]
	s_delay_alu instid0(VALU_DEP_3) | instskip(SKIP_1) | instid1(VALU_DEP_4)
	v_add_f64_e32 v[63:64], v[63:64], v[43:44]
	v_fma_f64 v[43:44], v[0:1], s[16:17], v[98:99]
	v_add_f64_e32 v[45:46], v[49:50], v[45:46]
	s_delay_alu instid0(VALU_DEP_4) | instskip(SKIP_1) | instid1(VALU_DEP_4)
	v_add_f64_e32 v[47:48], v[47:48], v[17:18]
	v_mul_f64_e32 v[17:18], s[12:13], v[90:91]
	v_add_f64_e32 v[43:44], v[43:44], v[41:42]
	v_fma_f64 v[41:42], v[2:3], s[16:17], -v[106:107]
	s_delay_alu instid0(VALU_DEP_3) | instskip(SKIP_1) | instid1(VALU_DEP_3)
	v_fma_f64 v[49:50], v[92:93], s[0:1], v[17:18]
	v_fma_f64 v[17:18], v[92:93], s[0:1], -v[17:18]
	v_add_f64_e32 v[41:42], v[41:42], v[63:64]
	s_delay_alu instid0(VALU_DEP_3) | instskip(NEXT) | instid1(VALU_DEP_3)
	v_add_f64_e32 v[49:50], v[49:50], v[110:111]
	v_add_f64_e32 v[17:18], v[17:18], v[112:113]
	v_mul_f64_e32 v[110:111], s[18:19], v[6:7]
	v_mul_f64_e32 v[112:113], s[28:29], v[4:5]
	s_delay_alu instid0(VALU_DEP_4) | instskip(SKIP_3) | instid1(VALU_DEP_3)
	v_add_f64_e32 v[49:50], v[59:60], v[49:50]
	v_mul_f64_e32 v[59:60], s[36:37], v[88:89]
	v_add_f64_e32 v[17:18], v[55:56], v[17:18]
	v_fma_f64 v[57:58], v[2:3], s[2:3], v[110:111]
	v_fma_f64 v[61:62], v[86:87], s[8:9], -v[59:60]
	v_fma_f64 v[55:56], v[86:87], s[8:9], v[59:60]
	s_delay_alu instid0(VALU_DEP_2) | instskip(SKIP_1) | instid1(VALU_DEP_3)
	v_add_f64_e32 v[51:52], v[61:62], v[51:52]
	v_mul_f64_e32 v[61:62], s[28:29], v[65:66]
	v_add_f64_e32 v[53:54], v[55:56], v[53:54]
	s_delay_alu instid0(VALU_DEP_2) | instskip(SKIP_3) | instid1(VALU_DEP_4)
	v_fma_f64 v[63:64], v[67:68], s[26:27], v[61:62]
	v_fma_f64 v[55:56], v[67:68], s[26:27], -v[61:62]
	v_mul_f64_e32 v[61:62], s[20:21], v[96:97]
	v_mul_f64_e32 v[96:97], s[24:25], v[96:97]
	v_add_f64_e32 v[49:50], v[63:64], v[49:50]
	v_mul_f64_e32 v[63:64], s[28:29], v[80:81]
	v_add_f64_e32 v[17:18], v[55:56], v[17:18]
	v_fma_f64 v[59:60], v[94:95], s[8:9], -v[61:62]
	v_fma_f64 v[61:62], v[94:95], s[8:9], v[61:62]
	s_delay_alu instid0(VALU_DEP_4)
	v_fma_f64 v[98:99], v[69:70], s[26:27], -v[63:64]
	v_fma_f64 v[55:56], v[69:70], s[26:27], v[63:64]
	v_mul_f64_e32 v[63:64], s[12:13], v[82:83]
	v_add_f64_e32 v[59:60], v[59:60], v[102:103]
	v_add_f64_e32 v[61:62], v[61:62], v[194:195]
	v_mul_f64_e32 v[82:83], s[22:23], v[82:83]
	v_add_f64_e32 v[51:52], v[98:99], v[51:52]
	v_mul_f64_e32 v[98:99], s[24:25], v[12:13]
	v_add_f64_e32 v[53:54], v[55:56], v[53:54]
	s_delay_alu instid0(VALU_DEP_2) | instskip(SKIP_3) | instid1(VALU_DEP_4)
	v_fma_f64 v[100:101], v[8:9], s[16:17], v[98:99]
	v_fma_f64 v[55:56], v[8:9], s[16:17], -v[98:99]
	v_fma_f64 v[98:99], v[84:85], s[0:1], v[63:64]
	v_fma_f64 v[63:64], v[84:85], s[0:1], -v[63:64]
	v_add_f64_e32 v[49:50], v[100:101], v[49:50]
	v_mul_f64_e32 v[100:101], s[24:25], v[14:15]
	v_add_f64_e32 v[17:18], v[55:56], v[17:18]
	s_delay_alu instid0(VALU_DEP_2) | instskip(SKIP_1) | instid1(VALU_DEP_2)
	v_fma_f64 v[55:56], v[10:11], s[16:17], v[100:101]
	v_fma_f64 v[106:107], v[10:11], s[16:17], -v[100:101]
	v_add_f64_e32 v[53:54], v[55:56], v[53:54]
	v_fma_f64 v[55:56], v[0:1], s[2:3], -v[108:109]
	s_delay_alu instid0(VALU_DEP_3) | instskip(SKIP_1) | instid1(VALU_DEP_4)
	v_add_f64_e32 v[106:107], v[106:107], v[51:52]
	v_fma_f64 v[51:52], v[0:1], s[2:3], v[108:109]
	v_add_f64_e32 v[53:54], v[57:58], v[53:54]
	s_delay_alu instid0(VALU_DEP_4) | instskip(SKIP_1) | instid1(VALU_DEP_4)
	v_add_f64_e32 v[55:56], v[55:56], v[17:18]
	v_mul_f64_e32 v[17:18], s[20:21], v[90:91]
	v_add_f64_e32 v[51:52], v[51:52], v[49:50]
	v_fma_f64 v[49:50], v[2:3], s[2:3], -v[110:111]
	s_delay_alu instid0(VALU_DEP_3) | instskip(SKIP_1) | instid1(VALU_DEP_3)
	v_fma_f64 v[57:58], v[92:93], s[8:9], v[17:18]
	v_fma_f64 v[17:18], v[92:93], s[8:9], -v[17:18]
	v_add_f64_e32 v[49:50], v[49:50], v[106:107]
	s_delay_alu instid0(VALU_DEP_3) | instskip(NEXT) | instid1(VALU_DEP_3)
	v_add_f64_e32 v[57:58], v[57:58], v[114:115]
	v_add_f64_e32 v[17:18], v[17:18], v[192:193]
	v_mul_f64_e32 v[114:115], s[28:29], v[6:7]
	s_delay_alu instid0(VALU_DEP_3) | instskip(SKIP_1) | instid1(VALU_DEP_4)
	v_add_f64_e32 v[57:58], v[98:99], v[57:58]
	v_mul_f64_e32 v[98:99], s[12:13], v[88:89]
	v_add_f64_e32 v[17:18], v[63:64], v[17:18]
	v_mul_f64_e32 v[88:89], s[22:23], v[88:89]
	s_delay_alu instid0(VALU_DEP_3) | instskip(SKIP_2) | instid1(VALU_DEP_3)
	v_fma_f64 v[100:101], v[86:87], s[0:1], -v[98:99]
	v_fma_f64 v[63:64], v[86:87], s[0:1], v[98:99]
	v_fma_f64 v[98:99], v[2:3], s[26:27], v[114:115]
	v_add_f64_e32 v[59:60], v[100:101], v[59:60]
	v_mul_f64_e32 v[100:101], s[34:35], v[65:66]
	s_delay_alu instid0(VALU_DEP_4) | instskip(SKIP_1) | instid1(VALU_DEP_3)
	v_add_f64_e32 v[61:62], v[63:64], v[61:62]
	v_mul_f64_e32 v[65:66], s[20:21], v[65:66]
	v_fma_f64 v[102:103], v[67:68], s[2:3], v[100:101]
	v_fma_f64 v[63:64], v[67:68], s[2:3], -v[100:101]
	v_fma_f64 v[100:101], v[84:85], s[14:15], -v[82:83]
	v_fma_f64 v[82:83], v[84:85], s[14:15], v[82:83]
	v_fma_f64 v[84:85], v[86:87], s[14:15], -v[88:89]
	v_add_f64_e32 v[57:58], v[102:103], v[57:58]
	v_mul_f64_e32 v[102:103], s[34:35], v[80:81]
	v_add_f64_e32 v[17:18], v[63:64], v[17:18]
	v_mul_f64_e32 v[80:81], s[20:21], v[80:81]
	s_delay_alu instid0(VALU_DEP_3) | instskip(SKIP_2) | instid1(VALU_DEP_3)
	v_fma_f64 v[106:107], v[69:70], s[2:3], -v[102:103]
	v_fma_f64 v[63:64], v[69:70], s[2:3], v[102:103]
	v_mul_f64_e32 v[102:103], s[12:13], v[6:7]
	v_add_f64_e32 v[59:60], v[106:107], v[59:60]
	v_mul_f64_e32 v[106:107], s[30:31], v[12:13]
	s_delay_alu instid0(VALU_DEP_4) | instskip(SKIP_1) | instid1(VALU_DEP_3)
	v_add_f64_e32 v[61:62], v[63:64], v[61:62]
	v_mul_f64_e32 v[12:13], s[18:19], v[12:13]
	v_fma_f64 v[108:109], v[8:9], s[14:15], v[106:107]
	v_fma_f64 v[63:64], v[8:9], s[14:15], -v[106:107]
	s_delay_alu instid0(VALU_DEP_2) | instskip(SKIP_1) | instid1(VALU_DEP_3)
	v_add_f64_e32 v[57:58], v[108:109], v[57:58]
	v_mul_f64_e32 v[108:109], s[30:31], v[14:15]
	v_add_f64_e32 v[17:18], v[63:64], v[17:18]
	v_mul_f64_e32 v[14:15], s[18:19], v[14:15]
	s_delay_alu instid0(VALU_DEP_3) | instskip(SKIP_1) | instid1(VALU_DEP_2)
	v_fma_f64 v[63:64], v[10:11], s[14:15], v[108:109]
	v_fma_f64 v[110:111], v[10:11], s[14:15], -v[108:109]
	v_add_f64_e32 v[61:62], v[63:64], v[61:62]
	v_fma_f64 v[63:64], v[0:1], s[26:27], -v[112:113]
	s_delay_alu instid0(VALU_DEP_3) | instskip(SKIP_1) | instid1(VALU_DEP_4)
	v_add_f64_e32 v[110:111], v[110:111], v[59:60]
	v_fma_f64 v[59:60], v[0:1], s[26:27], v[112:113]
	v_add_f64_e32 v[61:62], v[98:99], v[61:62]
	s_delay_alu instid0(VALU_DEP_4) | instskip(SKIP_4) | instid1(VALU_DEP_4)
	v_add_f64_e32 v[63:64], v[63:64], v[17:18]
	v_mul_f64_e32 v[17:18], s[24:25], v[90:91]
	v_fma_f64 v[98:99], v[94:95], s[16:17], v[96:97]
	v_add_f64_e32 v[59:60], v[59:60], v[57:58]
	v_fma_f64 v[57:58], v[2:3], s[26:27], -v[114:115]
	v_fma_f64 v[90:91], v[92:93], s[16:17], -v[17:18]
	s_delay_alu instid0(VALU_DEP_4) | instskip(SKIP_1) | instid1(VALU_DEP_4)
	v_add_f64_e32 v[98:99], v[98:99], v[196:197]
	v_fma_f64 v[17:18], v[92:93], s[16:17], v[17:18]
	v_add_f64_e32 v[57:58], v[57:58], v[110:111]
	s_delay_alu instid0(VALU_DEP_4) | instskip(NEXT) | instid1(VALU_DEP_3)
	v_add_f64_e32 v[90:91], v[90:91], v[198:199]
	v_add_f64_e32 v[17:18], v[17:18], v[200:201]
	s_delay_alu instid0(VALU_DEP_2) | instskip(SKIP_1) | instid1(VALU_DEP_3)
	v_add_f64_e32 v[90:91], v[100:101], v[90:91]
	v_fma_f64 v[100:101], v[86:87], s[14:15], v[88:89]
	v_add_f64_e32 v[17:18], v[82:83], v[17:18]
	s_delay_alu instid0(VALU_DEP_2) | instskip(SKIP_3) | instid1(VALU_DEP_3)
	v_add_f64_e32 v[98:99], v[100:101], v[98:99]
	v_fma_f64 v[100:101], v[67:68], s[8:9], -v[65:66]
	v_fma_f64 v[65:66], v[67:68], s[8:9], v[65:66]
	v_fma_f64 v[67:68], v[69:70], s[8:9], -v[80:81]
	v_add_f64_e32 v[90:91], v[100:101], v[90:91]
	v_fma_f64 v[100:101], v[69:70], s[8:9], v[80:81]
	s_delay_alu instid0(VALU_DEP_1) | instskip(SKIP_4) | instid1(VALU_DEP_4)
	v_add_f64_e32 v[98:99], v[100:101], v[98:99]
	v_fma_f64 v[100:101], v[8:9], s[2:3], -v[12:13]
	v_fma_f64 v[8:9], v[8:9], s[2:3], v[12:13]
	v_add_f64_e32 v[12:13], v[65:66], v[17:18]
	v_fma_f64 v[17:18], v[2:3], s[0:1], -v[102:103]
	v_add_f64_e32 v[90:91], v[100:101], v[90:91]
	v_fma_f64 v[100:101], v[10:11], s[2:3], v[14:15]
	v_fma_f64 v[10:11], v[10:11], s[2:3], -v[14:15]
	s_delay_alu instid0(VALU_DEP_2) | instskip(SKIP_1) | instid1(VALU_DEP_1)
	v_add_f64_e32 v[98:99], v[100:101], v[98:99]
	v_mul_f64_e32 v[100:101], s[12:13], v[4:5]
	v_fma_f64 v[4:5], v[0:1], s[0:1], -v[100:101]
	v_fma_f64 v[0:1], v[0:1], s[0:1], v[100:101]
	s_delay_alu instid0(VALU_DEP_2) | instskip(SKIP_3) | instid1(VALU_DEP_3)
	v_add_f64_e32 v[6:7], v[4:5], v[90:91]
	v_fma_f64 v[90:91], v[94:95], s[16:17], -v[96:97]
	v_fma_f64 v[4:5], v[2:3], s[0:1], v[102:103]
	v_add_f64_e32 v[2:3], v[8:9], v[12:13]
	v_add_f64_e32 v[86:87], v[90:91], v[104:105]
	s_delay_alu instid0(VALU_DEP_3) | instskip(NEXT) | instid1(VALU_DEP_3)
	v_add_f64_e32 v[4:5], v[4:5], v[98:99]
	v_add_f64_e32 v[2:3], v[0:1], v[2:3]
	s_delay_alu instid0(VALU_DEP_3) | instskip(NEXT) | instid1(VALU_DEP_1)
	v_add_f64_e32 v[69:70], v[84:85], v[86:87]
	v_add_f64_e32 v[14:15], v[67:68], v[69:70]
	s_delay_alu instid0(VALU_DEP_1) | instskip(NEXT) | instid1(VALU_DEP_1)
	v_add_f64_e32 v[8:9], v[10:11], v[14:15]
	v_add_f64_e32 v[0:1], v[17:18], v[8:9]
	s_clause 0x1
	scratch_load_b32 v8, off, off offset:312 th:TH_LOAD_LU
	scratch_load_b32 v9, off, off offset:316 th:TH_LOAD_LU
	s_wait_loadcnt 0x0
	v_lshl_add_u32 v8, v9, 4, v8
	ds_store_b128 v8, v[4:7] offset:16
	ds_store_b128 v8, v[61:64] offset:32
	;; [unrolled: 1-line block ×11, first 2 shown]
	ds_store_b128 v8, v[21:24]
	ds_store_b128 v8, v[0:3] offset:192
.LBB0_13:
	s_or_b32 exec_lo, exec_lo, s33
	global_wb scope:SCOPE_SE
	s_wait_dscnt 0x0
	s_barrier_signal -1
	s_barrier_wait -1
	global_inv scope:SCOPE_SE
	ds_load_b128 v[0:3], v20 offset:1456
	ds_load_b128 v[4:7], v20 offset:1664
	ds_load_b128 v[8:11], v20 offset:2912
	ds_load_b128 v[12:15], v20 offset:3120
	ds_load_b128 v[21:24], v20 offset:1872
	ds_load_b128 v[25:28], v20 offset:1248
	s_clause 0x1
	scratch_load_b128 v[86:89], off, off offset:336 th:TH_LOAD_LU
	scratch_load_b128 v[90:93], off, off offset:320 th:TH_LOAD_LU
	ds_load_b128 v[29:32], v20 offset:3328
	ds_load_b128 v[33:36], v20 offset:3536
	;; [unrolled: 1-line block ×5, first 2 shown]
	s_mov_b32 s0, 0xe8584caa
	s_mov_b32 s1, 0xbfebb67a
	;; [unrolled: 1-line block ×3, first 2 shown]
	s_wait_alu 0xfffe
	s_mov_b32 s2, s0
	s_mov_b32 s12, 0x37e14327
	;; [unrolled: 1-line block ×6, first 2 shown]
	s_wait_dscnt 0xa
	v_mul_f64_e32 v[17:18], v[78:79], v[2:3]
	v_mul_f64_e32 v[49:50], v[78:79], v[0:1]
	s_wait_dscnt 0x9
	v_mul_f64_e32 v[51:52], v[78:79], v[6:7]
	v_mul_f64_e32 v[53:54], v[78:79], v[4:5]
	s_wait_dscnt 0x8
	v_mul_f64_e32 v[55:56], v[74:75], v[10:11]
	v_mul_f64_e32 v[57:58], v[74:75], v[8:9]
	s_wait_dscnt 0x7
	v_mul_f64_e32 v[59:60], v[74:75], v[14:15]
	v_mul_f64_e32 v[61:62], v[74:75], v[12:13]
	s_mov_b32 s16, 0x5476071b
	s_mov_b32 s22, 0xb247c609
	s_mov_b32 s9, 0xbff2aaaa
	s_mov_b32 s17, 0x3fe77f67
	s_mov_b32 s19, 0xbfe77f67
	s_mov_b32 s23, 0xbfd5d0dc
	s_mov_b32 s21, 0x3fd5d0dc
	s_wait_alu 0xfffe
	s_mov_b32 s18, s16
	s_mov_b32 s20, s22
	v_fma_f64 v[17:18], v[76:77], v[0:1], v[17:18]
	v_fma_f64 v[74:75], v[76:77], v[2:3], -v[49:50]
	ds_load_b128 v[0:3], v20 offset:2496
	v_fma_f64 v[78:79], v[76:77], v[4:5], v[51:52]
	v_fma_f64 v[53:54], v[76:77], v[6:7], -v[53:54]
	ds_load_b128 v[4:7], v20 offset:3952
	ds_load_b128 v[49:52], v20 offset:2704
	v_fma_f64 v[59:60], v[72:73], v[12:13], v[59:60]
	scratch_load_b128 v[102:105], off, off offset:416 th:TH_LOAD_LU ; 16-byte Folded Reload
	v_fma_f64 v[55:56], v[72:73], v[8:9], v[55:56]
	v_fma_f64 v[57:58], v[72:73], v[10:11], -v[57:58]
	v_fma_f64 v[61:62], v[72:73], v[14:15], -v[61:62]
	ds_load_b128 v[8:11], v20 offset:4160
	s_wait_loadcnt_dscnt 0x20a
	v_mul_f64_e32 v[63:64], v[88:89], v[23:24]
	s_wait_loadcnt_dscnt 0x108
	v_mul_f64_e32 v[67:68], v[92:93], v[31:32]
	v_mul_f64_e32 v[69:70], v[92:93], v[29:30]
	scratch_load_b128 v[92:95], off, off offset:368 th:TH_LOAD_LU ; 16-byte Folded Reload
	v_mul_f64_e32 v[65:66], v[88:89], v[21:22]
	v_fma_f64 v[63:64], v[86:87], v[21:22], v[63:64]
	v_fma_f64 v[67:68], v[90:91], v[29:30], v[67:68]
	v_fma_f64 v[69:70], v[90:91], v[31:32], -v[69:70]
	s_wait_dscnt 0x0
	v_mul_f64_e32 v[90:91], v[122:123], v[8:9]
	v_fma_f64 v[65:66], v[86:87], v[23:24], -v[65:66]
	s_delay_alu instid0(VALU_DEP_2)
	v_fma_f64 v[90:91], v[120:121], v[10:11], -v[90:91]
	s_wait_loadcnt 0x0
	v_mul_f64_e32 v[76:77], v[94:95], v[39:40]
	v_mul_f64_e32 v[80:81], v[94:95], v[37:38]
	scratch_load_b128 v[94:97], off, off offset:384 th:TH_LOAD_LU ; 16-byte Folded Reload
	v_fma_f64 v[37:38], v[92:93], v[37:38], v[76:77]
	v_fma_f64 v[39:40], v[92:93], v[39:40], -v[80:81]
	v_mul_f64_e32 v[80:81], v[122:123], v[10:11]
	v_add_f64_e32 v[92:93], v[74:75], v[57:58]
	s_wait_loadcnt 0x0
	v_mul_f64_e32 v[82:83], v[96:97], v[35:36]
	v_mul_f64_e32 v[12:13], v[96:97], v[33:34]
	scratch_load_b128 v[96:99], off, off offset:400 th:TH_LOAD_LU ; 16-byte Folded Reload
	v_fma_f64 v[33:34], v[94:95], v[33:34], v[82:83]
	v_fma_f64 v[35:36], v[94:95], v[35:36], -v[12:13]
	v_add_f64_e32 v[94:95], v[78:79], v[59:60]
	s_delay_alu instid0(VALU_DEP_3) | instskip(NEXT) | instid1(VALU_DEP_3)
	v_add_f64_e64 v[212:213], v[37:38], -v[33:34]
	v_add_f64_e64 v[210:211], v[39:40], -v[35:36]
	s_wait_loadcnt 0x0
	v_mul_f64_e32 v[14:15], v[98:99], v[43:44]
	v_mul_f64_e32 v[71:72], v[98:99], v[41:42]
	scratch_load_b128 v[98:101], off, off offset:352 th:TH_LOAD_LU ; 16-byte Folded Reload
	v_mul_f64_e32 v[84:85], v[104:105], v[47:48]
	v_mul_f64_e32 v[21:22], v[104:105], v[45:46]
	scratch_load_b128 v[104:107], off, off offset:432 th:TH_LOAD_LU ; 16-byte Folded Reload
	v_fma_f64 v[41:42], v[96:97], v[41:42], v[14:15]
	v_fma_f64 v[43:44], v[96:97], v[43:44], -v[71:72]
	v_add_f64_e32 v[96:97], v[53:54], v[61:62]
	v_fma_f64 v[45:46], v[102:103], v[45:46], v[84:85]
	v_fma_f64 v[47:48], v[102:103], v[47:48], -v[21:22]
	v_add_f64_e32 v[102:103], v[39:40], v[35:36]
	s_delay_alu instid0(VALU_DEP_3) | instskip(NEXT) | instid1(VALU_DEP_3)
	v_add_f64_e64 v[216:217], v[41:42], -v[45:46]
	v_add_f64_e64 v[214:215], v[43:44], -v[47:48]
	s_wait_loadcnt 0x1
	v_mul_f64_e32 v[31:32], v[100:101], v[51:52]
	v_mul_f64_e32 v[76:77], v[100:101], v[49:50]
	v_add_f64_e32 v[100:101], v[37:38], v[33:34]
	s_wait_loadcnt 0x0
	v_mul_f64_e32 v[23:24], v[106:107], v[2:3]
	v_mul_f64_e32 v[86:87], v[106:107], v[0:1]
	scratch_load_b128 v[106:109], off, off offset:448 th:TH_LOAD_LU ; 16-byte Folded Reload
	v_fma_f64 v[49:50], v[98:99], v[49:50], v[31:32]
	v_fma_f64 v[51:52], v[98:99], v[51:52], -v[76:77]
	v_fma_f64 v[76:77], v[120:121], v[8:9], v[80:81]
	v_fma_f64 v[71:72], v[104:105], v[0:1], v[23:24]
	v_fma_f64 v[82:83], v[104:105], v[2:3], -v[86:87]
	v_add_f64_e32 v[104:105], v[41:42], v[45:46]
	v_add_f64_e32 v[80:81], v[63:64], v[67:68]
	;; [unrolled: 1-line block ×4, first 2 shown]
	v_add_f64_e64 v[220:221], v[51:52], -v[90:91]
	v_add_f64_e64 v[222:223], v[49:50], -v[76:77]
	s_wait_loadcnt 0x0
	v_mul_f64_e32 v[88:89], v[108:109], v[6:7]
	v_mul_f64_e32 v[29:30], v[108:109], v[4:5]
	s_delay_alu instid0(VALU_DEP_2) | instskip(SKIP_1) | instid1(VALU_DEP_3)
	v_fma_f64 v[84:85], v[106:107], v[4:5], v[88:89]
	v_add_f64_e32 v[88:89], v[17:18], v[55:56]
	v_fma_f64 v[86:87], v[106:107], v[6:7], -v[29:30]
	ds_load_b128 v[0:3], v20
	ds_load_b128 v[4:7], v20 offset:208
	ds_load_b128 v[8:11], v20 offset:416
	;; [unrolled: 1-line block ×5, first 2 shown]
	v_add_f64_e32 v[106:107], v[43:44], v[47:48]
	global_wb scope:SCOPE_SE
	s_wait_dscnt 0x0
	s_barrier_signal -1
	s_barrier_wait -1
	global_inv scope:SCOPE_SE
	v_add_f64_e32 v[112:113], v[0:1], v[17:18]
	v_add_f64_e32 v[114:115], v[2:3], v[74:75]
	v_fma_f64 v[92:93], v[92:93], -0.5, v[2:3]
	v_add_f64_e32 v[196:197], v[12:13], v[37:38]
	v_add_f64_e32 v[198:199], v[14:15], v[39:40]
	v_add_f64_e64 v[73:74], v[74:75], -v[57:58]
	v_add_f64_e64 v[17:18], v[17:18], -v[55:56]
	v_add_f64_e32 v[120:121], v[4:5], v[78:79]
	v_add_f64_e32 v[122:123], v[6:7], v[53:54]
	v_fma_f64 v[94:95], v[94:95], -0.5, v[4:5]
	v_fma_f64 v[96:97], v[96:97], -0.5, v[6:7]
	v_add_f64_e32 v[4:5], v[49:50], v[76:77]
	v_add_f64_e32 v[6:7], v[51:52], v[90:91]
	v_add_f64_e64 v[53:54], v[53:54], -v[61:62]
	v_add_f64_e64 v[78:79], v[78:79], -v[59:60]
	v_add_f64_e32 v[200:201], v[21:22], v[41:42]
	v_add_f64_e32 v[202:203], v[23:24], v[43:44]
	v_fma_f64 v[88:89], v[88:89], -0.5, v[0:1]
	v_fma_f64 v[100:101], v[100:101], -0.5, v[12:13]
	;; [unrolled: 1-line block ×4, first 2 shown]
	v_add_f64_e32 v[192:193], v[8:9], v[63:64]
	v_fma_f64 v[106:107], v[106:107], -0.5, v[23:24]
	v_add_f64_e32 v[194:195], v[10:11], v[65:66]
	v_add_f64_e32 v[110:111], v[82:83], v[86:87]
	v_fma_f64 v[80:81], v[80:81], -0.5, v[8:9]
	v_fma_f64 v[98:99], v[98:99], -0.5, v[10:11]
	v_add_f64_e64 v[65:66], v[65:66], -v[69:70]
	v_add_f64_e64 v[63:64], v[63:64], -v[67:68]
	v_add_f64_e32 v[206:207], v[31:32], v[82:83]
	v_add_f64_e32 v[108:109], v[71:72], v[84:85]
	;; [unrolled: 1-line block ×3, first 2 shown]
	v_add_f64_e64 v[218:219], v[71:72], -v[84:85]
	v_add_f64_e64 v[82:83], v[82:83], -v[86:87]
	v_add_f64_e32 v[0:1], v[112:113], v[55:56]
	v_add_f64_e32 v[2:3], v[114:115], v[57:58]
	v_add_f64_e32 v[12:13], v[196:197], v[33:34]
	v_add_f64_e32 v[14:15], v[198:199], v[35:36]
	v_fma_f64 v[35:36], v[17:18], s[2:3], v[92:93]
	v_fma_f64 v[39:40], v[17:18], s[0:1], v[92:93]
	v_fma_f64 v[112:113], v[4:5], -0.5, v[25:26]
	v_add_f64_e32 v[4:5], v[120:121], v[59:60]
	v_fma_f64 v[114:115], v[6:7], -0.5, v[27:28]
	v_add_f64_e32 v[6:7], v[122:123], v[61:62]
	v_fma_f64 v[41:42], v[53:54], s[0:1], v[94:95]
	v_fma_f64 v[43:44], v[78:79], s[2:3], v[96:97]
	;; [unrolled: 1-line block ×4, first 2 shown]
	v_add_f64_e32 v[21:22], v[200:201], v[45:46]
	v_add_f64_e32 v[23:24], v[202:203], v[47:48]
	v_fma_f64 v[45:46], v[53:54], s[2:3], v[94:95]
	v_fma_f64 v[47:48], v[78:79], s[0:1], v[96:97]
	v_add_f64_e32 v[8:9], v[192:193], v[67:68]
	v_add_f64_e32 v[10:11], v[194:195], v[69:70]
	v_fma_f64 v[110:111], v[110:111], -0.5, v[31:32]
	v_add_f64_e32 v[31:32], v[27:28], v[51:52]
	v_fma_f64 v[49:50], v[65:66], s[0:1], v[80:81]
	v_fma_f64 v[51:52], v[63:64], s[2:3], v[98:99]
	;; [unrolled: 1-line block ×7, first 2 shown]
	ds_store_b128 v20, v[0:3]
	ds_store_b128 v20, v[33:36] offset:208
	ds_store_b128 v20, v[37:40] offset:416
	;; [unrolled: 1-line block ×5, first 2 shown]
	scratch_load_b32 v0, off, off offset:496 th:TH_LOAD_LU ; 4-byte Folded Reload
	v_fma_f64 v[63:64], v[212:213], s[0:1], v[102:103]
	v_fma_f64 v[65:66], v[214:215], s[0:1], v[104:105]
	;; [unrolled: 1-line block ×5, first 2 shown]
	v_fma_f64 v[108:109], v[108:109], -0.5, v[29:30]
	v_add_f64_e32 v[25:26], v[204:205], v[84:85]
	v_add_f64_e32 v[27:28], v[206:207], v[86:87]
	;; [unrolled: 1-line block ×3, first 2 shown]
	v_fma_f64 v[75:76], v[218:219], s[2:3], v[110:111]
	v_fma_f64 v[79:80], v[218:219], s[0:1], v[110:111]
	v_add_f64_e32 v[31:32], v[31:32], v[90:91]
	v_fma_f64 v[85:86], v[220:221], s[2:3], v[112:113]
	v_fma_f64 v[87:88], v[222:223], s[0:1], v[114:115]
	s_wait_loadcnt 0x0
	ds_store_b128 v0, v[8:11] offset:1248
	ds_store_b128 v0, v[49:52] offset:1456
	;; [unrolled: 1-line block ×3, first 2 shown]
	scratch_load_b32 v0, off, off offset:488 th:TH_LOAD_LU ; 4-byte Folded Reload
	v_fma_f64 v[73:74], v[82:83], s[0:1], v[108:109]
	v_fma_f64 v[77:78], v[82:83], s[2:3], v[108:109]
	;; [unrolled: 1-line block ×4, first 2 shown]
	s_mov_b32 s0, 0x36b3c0b5
	s_mov_b32 s2, 0x429ad128
	;; [unrolled: 1-line block ×4, first 2 shown]
	s_wait_loadcnt 0x0
	ds_store_b128 v0, v[12:15] offset:1872
	ds_store_b128 v0, v[57:60] offset:2080
	ds_store_b128 v0, v[61:64] offset:2288
	scratch_load_b32 v0, off, off offset:480 th:TH_LOAD_LU ; 4-byte Folded Reload
	s_wait_loadcnt 0x0
	ds_store_b128 v0, v[21:24] offset:2496
	ds_store_b128 v0, v[65:68] offset:2704
	ds_store_b128 v0, v[69:72] offset:2912
	scratch_load_b32 v0, off, off offset:472 th:TH_LOAD_LU ; 4-byte Folded Reload
	;; [unrolled: 5-line block ×3, first 2 shown]
	s_wait_loadcnt 0x0
	ds_store_b128 v0, v[29:32] offset:3744
	ds_store_b128 v0, v[81:84] offset:3952
	;; [unrolled: 1-line block ×3, first 2 shown]
	global_wb scope:SCOPE_SE
	s_wait_dscnt 0x0
	s_barrier_signal -1
	s_barrier_wait -1
	global_inv scope:SCOPE_SE
	ds_load_b128 v[4:7], v20 offset:624
	ds_load_b128 v[8:11], v20 offset:1248
	;; [unrolled: 1-line block ×19, first 2 shown]
	s_wait_dscnt 0x12
	v_mul_f64_e32 v[17:18], v[118:119], v[6:7]
	v_mul_f64_e32 v[81:82], v[118:119], v[4:5]
	s_wait_dscnt 0x11
	v_mul_f64_e32 v[83:84], v[138:139], v[10:11]
	v_mul_f64_e32 v[85:86], v[138:139], v[8:9]
	;; [unrolled: 3-line block ×11, first 2 shown]
	v_mul_f64_e32 v[97:98], v[190:191], v[25:26]
	v_mul_f64_e32 v[118:119], v[186:187], v[43:44]
	v_fma_f64 v[4:5], v[116:117], v[4:5], v[17:18]
	v_fma_f64 v[6:7], v[116:117], v[6:7], -v[81:82]
	v_mul_f64_e32 v[17:18], v[182:183], v[67:68]
	s_wait_dscnt 0x2
	v_mul_f64_e32 v[81:82], v[178:179], v[71:72]
	v_mul_f64_e32 v[115:116], v[178:179], v[69:70]
	v_fma_f64 v[8:9], v[136:137], v[8:9], v[83:84]
	v_fma_f64 v[10:11], v[136:137], v[10:11], -v[85:86]
	v_mul_f64_e32 v[83:84], v[186:187], v[41:42]
	v_fma_f64 v[12:13], v[152:153], v[12:13], v[87:88]
	v_fma_f64 v[14:15], v[152:153], v[14:15], -v[89:90]
	v_fma_f64 v[21:22], v[140:141], v[21:22], v[91:92]
	v_fma_f64 v[23:24], v[140:141], v[23:24], -v[93:94]
	s_wait_dscnt 0x1
	v_mul_f64_e32 v[85:86], v[134:135], v[75:76]
	v_mul_f64_e32 v[87:88], v[134:135], v[73:74]
	;; [unrolled: 1-line block ×4, first 2 shown]
	v_fma_f64 v[29:30], v[148:149], v[29:30], v[99:100]
	v_fma_f64 v[31:32], v[148:149], v[31:32], -v[101:102]
	v_fma_f64 v[33:34], v[156:157], v[33:34], v[103:104]
	v_fma_f64 v[35:36], v[156:157], v[35:36], -v[105:106]
	;; [unrolled: 2-line block ×4, first 2 shown]
	s_wait_dscnt 0x0
	v_mul_f64_e32 v[93:94], v[126:127], v[79:80]
	v_mul_f64_e32 v[126:127], v[126:127], v[77:78]
	v_mul_f64_e32 v[99:100], v[130:131], v[63:64]
	v_mul_f64_e32 v[101:102], v[130:131], v[61:62]
	v_fma_f64 v[53:54], v[168:169], v[53:54], v[120:121]
	v_fma_f64 v[55:56], v[168:169], v[55:56], -v[122:123]
	v_fma_f64 v[57:58], v[172:173], v[57:58], v[138:139]
	v_fma_f64 v[59:60], v[172:173], v[59:60], -v[142:143]
	;; [unrolled: 2-line block ×3, first 2 shown]
	v_fma_f64 v[41:42], v[184:185], v[41:42], v[118:119]
	v_fma_f64 v[17:18], v[180:181], v[65:66], v[17:18]
	;; [unrolled: 1-line block ×3, first 2 shown]
	v_fma_f64 v[71:72], v[176:177], v[71:72], -v[115:116]
	v_fma_f64 v[65:66], v[180:181], v[67:68], -v[150:151]
	;; [unrolled: 1-line block ×3, first 2 shown]
	v_add_f64_e32 v[67:68], v[4:5], v[12:13]
	v_add_f64_e32 v[81:82], v[6:7], v[14:15]
	;; [unrolled: 1-line block ×4, first 2 shown]
	v_fma_f64 v[73:74], v[132:133], v[73:74], v[85:86]
	v_fma_f64 v[75:76], v[132:133], v[75:76], -v[87:88]
	v_fma_f64 v[45:46], v[144:145], v[45:46], v[89:90]
	v_fma_f64 v[47:48], v[144:145], v[47:48], -v[91:92]
	v_add_f64_e64 v[21:22], v[8:9], -v[21:22]
	v_add_f64_e64 v[23:24], v[10:11], -v[23:24]
	;; [unrolled: 1-line block ×4, first 2 shown]
	v_add_f64_e32 v[85:86], v[29:30], v[37:38]
	v_add_f64_e32 v[87:88], v[31:32], v[39:40]
	v_add_f64_e32 v[89:90], v[33:34], v[49:50]
	v_add_f64_e32 v[91:92], v[35:36], v[51:52]
	v_fma_f64 v[77:78], v[124:125], v[77:78], v[93:94]
	v_fma_f64 v[79:80], v[124:125], v[79:80], -v[126:127]
	v_fma_f64 v[61:62], v[128:129], v[61:62], v[99:100]
	v_fma_f64 v[63:64], v[128:129], v[63:64], -v[101:102]
	v_add_f64_e64 v[33:34], v[33:34], -v[49:50]
	v_add_f64_e64 v[35:36], v[35:36], -v[51:52]
	;; [unrolled: 1-line block ×4, first 2 shown]
	ds_load_b128 v[4:7], v20
	ds_load_b128 v[8:11], v20 offset:208
	v_add_f64_e32 v[103:104], v[25:26], v[41:42]
	v_add_f64_e64 v[25:26], v[41:42], -v[25:26]
	v_add_f64_e32 v[99:100], v[57:58], v[17:18]
	v_add_f64_e32 v[93:94], v[53:54], v[69:70]
	v_add_f64_e32 v[97:98], v[55:56], v[71:72]
	v_add_f64_e32 v[101:102], v[59:60], v[65:66]
	v_add_f64_e64 v[49:50], v[53:54], -v[69:70]
	v_add_f64_e32 v[105:106], v[27:28], v[43:44]
	v_add_f64_e64 v[27:28], v[43:44], -v[27:28]
	v_add_f64_e64 v[51:52], v[55:56], -v[71:72]
	v_add_f64_e32 v[41:42], v[83:84], v[67:68]
	v_add_f64_e32 v[43:44], v[95:96], v[81:82]
	v_add_f64_e64 v[17:18], v[57:58], -v[17:18]
	v_add_f64_e64 v[53:54], v[59:60], -v[65:66]
	v_add_f64_e32 v[107:108], v[73:74], v[45:46]
	v_add_f64_e32 v[109:110], v[75:76], v[47:48]
	v_add_f64_e64 v[45:46], v[45:46], -v[73:74]
	v_add_f64_e64 v[47:48], v[47:48], -v[75:76]
	;; [unrolled: 1-line block ×3, first 2 shown]
	v_add_f64_e32 v[37:38], v[89:90], v[85:86]
	v_add_f64_e32 v[39:40], v[91:92], v[87:88]
	v_add_f64_e32 v[55:56], v[77:78], v[61:62]
	v_add_f64_e32 v[57:58], v[79:80], v[63:64]
	v_add_f64_e64 v[59:60], v[61:62], -v[77:78]
	v_add_f64_e64 v[61:62], v[63:64], -v[79:80]
	;; [unrolled: 1-line block ×5, first 2 shown]
	v_add_f64_e32 v[79:80], v[25:26], v[21:22]
	v_add_f64_e64 v[83:84], v[25:26], -v[21:22]
	v_add_f64_e64 v[21:22], v[21:22], -v[12:13]
	;; [unrolled: 1-line block ×3, first 2 shown]
	v_add_f64_e32 v[69:70], v[99:100], v[93:94]
	v_add_f64_e32 v[71:72], v[101:102], v[97:98]
	v_add_f64_e64 v[73:74], v[81:82], -v[105:106]
	v_add_f64_e64 v[77:78], v[105:106], -v[95:96]
	v_add_f64_e32 v[81:82], v[27:28], v[23:24]
	v_add_f64_e64 v[95:96], v[27:28], -v[23:24]
	v_add_f64_e32 v[41:42], v[103:104], v[41:42]
	v_add_f64_e32 v[43:44], v[105:106], v[43:44]
	v_add_f64_e64 v[23:24], v[23:24], -v[14:15]
	v_add_f64_e64 v[103:104], v[89:90], -v[85:86]
	;; [unrolled: 1-line block ×5, first 2 shown]
	v_add_f64_e32 v[111:112], v[45:46], v[33:34]
	v_add_f64_e32 v[113:114], v[47:48], v[35:36]
	v_add_f64_e64 v[115:116], v[45:46], -v[33:34]
	v_add_f64_e64 v[117:118], v[47:48], -v[35:36]
	v_add_f64_e32 v[37:38], v[107:108], v[37:38]
	v_add_f64_e32 v[39:40], v[109:110], v[39:40]
	v_add_f64_e64 v[33:34], v[33:34], -v[29:30]
	v_add_f64_e64 v[35:36], v[35:36], -v[31:32]
	;; [unrolled: 1-line block ×6, first 2 shown]
	v_add_f64_e32 v[119:120], v[59:60], v[17:18]
	v_add_f64_e64 v[93:94], v[93:94], -v[55:56]
	v_add_f64_e64 v[97:98], v[97:98], -v[57:58]
	v_add_f64_e32 v[121:122], v[61:62], v[53:54]
	v_add_f64_e64 v[27:28], v[14:15], -v[27:28]
	v_mul_f64_e32 v[67:68], s[12:13], v[67:68]
	s_wait_alu 0xfffe
	v_mul_f64_e32 v[123:124], s[0:1], v[75:76]
	v_mul_f64_e32 v[83:84], s[14:15], v[83:84]
	v_add_f64_e32 v[12:13], v[79:80], v[12:13]
	v_mul_f64_e32 v[79:80], s[2:3], v[21:22]
	v_add_f64_e64 v[45:46], v[29:30], -v[45:46]
	v_add_f64_e32 v[69:70], v[55:56], v[69:70]
	v_add_f64_e64 v[55:56], v[55:56], -v[99:100]
	v_add_f64_e32 v[71:72], v[57:58], v[71:72]
	v_add_f64_e64 v[57:58], v[57:58], -v[101:102]
	v_add_f64_e64 v[99:100], v[59:60], -v[17:18]
	;; [unrolled: 1-line block ×5, first 2 shown]
	v_mul_f64_e32 v[73:74], s[12:13], v[73:74]
	v_mul_f64_e32 v[125:126], s[0:1], v[77:78]
	s_wait_dscnt 0x1
	v_add_f64_e32 v[4:5], v[4:5], v[41:42]
	v_add_f64_e32 v[6:7], v[6:7], v[43:44]
	v_mul_f64_e32 v[95:96], s[14:15], v[95:96]
	v_add_f64_e32 v[14:15], v[81:82], v[14:15]
	v_mul_f64_e32 v[81:82], s[2:3], v[23:24]
	v_add_f64_e64 v[47:48], v[31:32], -v[47:48]
	v_mul_f64_e32 v[85:86], s[12:13], v[85:86]
	v_mul_f64_e32 v[87:88], s[12:13], v[87:88]
	v_add_f64_e32 v[29:30], v[111:112], v[29:30]
	s_wait_dscnt 0x0
	v_add_f64_e32 v[8:9], v[8:9], v[37:38]
	v_add_f64_e32 v[10:11], v[10:11], v[39:40]
	;; [unrolled: 1-line block ×3, first 2 shown]
	v_mul_f64_e32 v[111:112], s[14:15], v[115:116]
	v_mul_f64_e32 v[113:114], s[14:15], v[117:118]
	;; [unrolled: 1-line block ×6, first 2 shown]
	v_add_f64_e64 v[59:60], v[49:50], -v[59:60]
	v_add_f64_e64 v[61:62], v[51:52], -v[61:62]
	v_add_f64_e32 v[49:50], v[119:120], v[49:50]
	v_mul_f64_e32 v[93:94], s[12:13], v[93:94]
	v_mul_f64_e32 v[97:98], s[12:13], v[97:98]
	v_add_f64_e32 v[51:52], v[121:122], v[51:52]
	v_fma_f64 v[75:76], v[75:76], s[0:1], v[67:68]
	v_fma_f64 v[123:124], v[63:64], s[16:17], -v[123:124]
	v_fma_f64 v[63:64], v[63:64], s[18:19], -v[67:68]
	v_fma_f64 v[67:68], v[25:26], s[22:23], v[83:84]
	v_add_f64_e32 v[0:1], v[0:1], v[69:70]
	v_mul_f64_e32 v[119:120], s[0:1], v[55:56]
	v_add_f64_e32 v[2:3], v[2:3], v[71:72]
	v_mul_f64_e32 v[121:122], s[0:1], v[57:58]
	v_mul_f64_e32 v[99:100], s[14:15], v[99:100]
	;; [unrolled: 1-line block ×5, first 2 shown]
	v_fma_f64 v[77:78], v[77:78], s[0:1], v[73:74]
	v_fma_f64 v[125:126], v[65:66], s[16:17], -v[125:126]
	v_fma_f64 v[41:42], v[41:42], s[8:9], v[4:5]
	v_fma_f64 v[43:44], v[43:44], s[8:9], v[6:7]
	v_fma_f64 v[65:66], v[65:66], s[18:19], -v[73:74]
	v_fma_f64 v[73:74], v[27:28], s[22:23], v[95:96]
	v_fma_f64 v[25:26], v[25:26], s[20:21], -v[79:80]
	v_fma_f64 v[27:28], v[27:28], s[20:21], -v[81:82]
	;; [unrolled: 1-line block ×3, first 2 shown]
	v_fma_f64 v[79:80], v[89:90], s[0:1], v[85:86]
	v_fma_f64 v[81:82], v[91:92], s[0:1], v[87:88]
	;; [unrolled: 1-line block ×4, first 2 shown]
	v_fma_f64 v[21:22], v[21:22], s[2:3], -v[83:84]
	v_fma_f64 v[91:92], v[45:46], s[22:23], v[111:112]
	v_fma_f64 v[95:96], v[47:48], s[22:23], v[113:114]
	v_fma_f64 v[85:86], v[103:104], s[18:19], -v[85:86]
	v_fma_f64 v[87:88], v[105:106], s[18:19], -v[87:88]
	;; [unrolled: 1-line block ×8, first 2 shown]
	v_fma_f64 v[55:56], v[55:56], s[0:1], v[93:94]
	v_fma_f64 v[57:58], v[57:58], s[0:1], v[97:98]
	v_fma_f64 v[93:94], v[107:108], s[18:19], -v[93:94]
	v_fma_f64 v[97:98], v[109:110], s[18:19], -v[97:98]
	s_mov_b32 s0, 0x37c3f68c
	s_mov_b32 s1, 0xbfdc38aa
	v_fma_f64 v[69:70], v[69:70], s[8:9], v[0:1]
	v_fma_f64 v[103:104], v[107:108], s[16:17], -v[119:120]
	v_fma_f64 v[71:72], v[71:72], s[8:9], v[2:3]
	v_fma_f64 v[105:106], v[59:60], s[22:23], v[99:100]
	;; [unrolled: 1-line block ×3, first 2 shown]
	v_fma_f64 v[59:60], v[59:60], s[20:21], -v[131:132]
	v_fma_f64 v[61:62], v[61:62], s[20:21], -v[133:134]
	v_fma_f64 v[17:18], v[17:18], s[2:3], -v[99:100]
	v_fma_f64 v[53:54], v[53:54], s[2:3], -v[101:102]
	v_fma_f64 v[99:100], v[109:110], s[16:17], -v[121:122]
	v_add_f64_e32 v[75:76], v[75:76], v[41:42]
	v_add_f64_e32 v[77:78], v[77:78], v[43:44]
	;; [unrolled: 1-line block ×6, first 2 shown]
	s_wait_alu 0xfffe
	v_fma_f64 v[63:64], v[14:15], s[0:1], v[73:74]
	v_fma_f64 v[65:66], v[12:13], s[0:1], v[67:68]
	;; [unrolled: 1-line block ×4, first 2 shown]
	v_add_f64_e32 v[79:80], v[79:80], v[37:38]
	v_add_f64_e32 v[81:82], v[81:82], v[39:40]
	v_fma_f64 v[95:96], v[31:32], s[0:1], v[95:96]
	v_fma_f64 v[91:92], v[29:30], s[0:1], v[91:92]
	;; [unrolled: 1-line block ×4, first 2 shown]
	v_add_f64_e32 v[85:86], v[85:86], v[37:38]
	v_add_f64_e32 v[87:88], v[87:88], v[39:40]
	v_fma_f64 v[115:116], v[31:32], s[0:1], v[47:48]
	v_fma_f64 v[117:118], v[29:30], s[0:1], v[45:46]
	v_add_f64_e32 v[83:84], v[83:84], v[37:38]
	v_add_f64_e32 v[89:90], v[89:90], v[39:40]
	v_fma_f64 v[119:120], v[31:32], s[0:1], v[35:36]
	v_fma_f64 v[121:122], v[29:30], s[0:1], v[33:34]
	v_add_f64_e32 v[123:124], v[55:56], v[69:70]
	v_add_f64_e32 v[93:94], v[93:94], v[69:70]
	;; [unrolled: 1-line block ×4, first 2 shown]
	v_fma_f64 v[105:106], v[49:50], s[0:1], v[105:106]
	v_fma_f64 v[107:108], v[51:52], s[0:1], v[107:108]
	;; [unrolled: 1-line block ×4, first 2 shown]
	v_add_f64_e32 v[103:104], v[103:104], v[69:70]
	v_fma_f64 v[17:18], v[49:50], s[0:1], v[17:18]
	v_fma_f64 v[131:132], v[51:52], s[0:1], v[53:54]
	v_add_f64_e32 v[99:100], v[99:100], v[71:72]
	s_mul_u64 s[0:1], s[4:5], 21
	s_wait_alu 0xfffe
	s_lshl_b64 s[2:3], s[0:1], 4
	v_add_f64_e64 v[37:38], v[75:76], -v[63:64]
	v_add_f64_e32 v[39:40], v[65:66], v[77:78]
	v_add_f64_e32 v[21:22], v[67:68], v[41:42]
	v_add_f64_e64 v[23:24], v[43:44], -v[73:74]
	v_add_f64_e64 v[33:34], v[41:42], -v[67:68]
	v_add_f64_e32 v[35:36], v[73:74], v[43:44]
	v_add_f64_e32 v[41:42], v[95:96], v[79:80]
	v_add_f64_e64 v[43:44], v[81:82], -v[91:92]
	;; [unrolled: 4-line block ×3, first 2 shown]
	v_add_f64_e32 v[45:46], v[115:116], v[85:86]
	v_add_f64_e64 v[47:48], v[87:88], -v[117:118]
	v_add_f64_e64 v[57:58], v[85:86], -v[115:116]
	v_add_f64_e32 v[59:60], v[117:118], v[87:88]
	v_add_f64_e64 v[49:50], v[83:84], -v[119:120]
	v_add_f64_e32 v[51:52], v[121:122], v[89:90]
	v_add_f64_e32 v[53:54], v[119:120], v[83:84]
	v_add_f64_e64 v[55:56], v[89:90], -v[121:122]
	v_add_f64_e32 v[12:13], v[63:64], v[75:76]
	v_add_f64_e64 v[14:15], v[77:78], -v[65:66]
	v_add_f64_e64 v[61:62], v[79:80], -v[95:96]
	v_add_f64_e32 v[63:64], v[91:92], v[81:82]
	v_add_f64_e64 v[67:68], v[125:126], -v[105:106]
	v_add_f64_e32 v[65:66], v[107:108], v[123:124]
	v_add_f64_e64 v[71:72], v[97:98], -v[129:130]
	v_add_f64_e32 v[69:70], v[127:128], v[93:94]
	v_add_f64_e64 v[81:82], v[93:94], -v[127:128]
	v_add_f64_e32 v[83:84], v[129:130], v[97:98]
	v_add_f64_e64 v[73:74], v[103:104], -v[131:132]
	v_add_f64_e32 v[75:76], v[17:18], v[99:100]
	v_add_f64_e32 v[77:78], v[131:132], v[103:104]
	v_add_f64_e64 v[79:80], v[99:100], -v[17:18]
	v_add_f64_e64 v[85:86], v[123:124], -v[107:108]
	v_add_f64_e32 v[87:88], v[105:106], v[125:126]
	ds_store_b128 v20, v[4:7]
	ds_store_b128 v20, v[8:11] offset:208
	ds_store_b128 v20, v[21:24] offset:1248
	;; [unrolled: 1-line block ×20, first 2 shown]
	global_wb scope:SCOPE_SE
	s_wait_dscnt 0x0
	s_barrier_signal -1
	s_barrier_wait -1
	global_inv scope:SCOPE_SE
	ds_load_b128 v[0:3], v20
	ds_load_b128 v[4:7], v20 offset:336
	s_clause 0x3
	scratch_load_b128 v[69:72], off, off offset:144 th:TH_LOAD_LU
	scratch_load_b64 v[8:9], off, off offset:192 th:TH_LOAD_LU
	scratch_load_b128 v[65:68], off, off offset:112 th:TH_LOAD_LU
	scratch_load_b32 v23, off, off th:TH_LOAD_LU
	s_wait_loadcnt_dscnt 0x300
	v_mul_f64_e32 v[45:46], v[71:72], v[6:7]
	s_wait_loadcnt 0x2
	v_mov_b32_e32 v22, v8
	ds_load_b128 v[8:11], v20 offset:672
	s_wait_loadcnt 0x0
	v_mad_co_u64_u32 v[51:52], null, s4, v23, 0
	ds_load_b128 v[12:15], v20 offset:1008
	ds_load_b128 v[16:19], v20 offset:1344
	v_mad_co_u64_u32 v[49:50], null, s6, v22, 0
	v_mul_f64_e32 v[41:42], v[67:68], v[2:3]
	v_mul_f64_e32 v[43:44], v[67:68], v[0:1]
	;; [unrolled: 1-line block ×3, first 2 shown]
	s_delay_alu instid0(VALU_DEP_4) | instskip(NEXT) | instid1(VALU_DEP_1)
	v_mov_b32_e32 v21, v50
	v_mad_co_u64_u32 v[25:26], null, s7, v22, v[21:22]
	v_mov_b32_e32 v21, v52
	s_mov_b32 s6, 0x1e01e01e
	s_mov_b32 s7, 0x3f6e01e0
	s_delay_alu instid0(VALU_DEP_2) | instskip(NEXT) | instid1(VALU_DEP_2)
	v_mov_b32_e32 v50, v25
	v_mad_co_u64_u32 v[52:53], null, s5, v23, v[21:22]
	ds_load_b128 v[21:24], v20 offset:1680
	ds_load_b128 v[25:28], v20 offset:2016
	;; [unrolled: 1-line block ×5, first 2 shown]
	scratch_load_b128 v[101:104], off, off offset:96 th:TH_LOAD_LU ; 16-byte Folded Reload
	v_fma_f64 v[67:68], v[69:70], v[4:5], v[45:46]
	v_fma_f64 v[0:1], v[65:66], v[0:1], v[41:42]
	v_fma_f64 v[65:66], v[65:66], v[2:3], -v[43:44]
	ds_load_b128 v[41:44], v20 offset:3360
	v_fma_f64 v[69:70], v[69:70], v[6:7], -v[47:48]
	v_lshlrev_b64_e32 v[2:3], 4, v[49:50]
	v_lshlrev_b64_e32 v[49:50], 4, v[51:52]
	s_delay_alu instid0(VALU_DEP_2) | instskip(SKIP_1) | instid1(VALU_DEP_3)
	v_add_co_u32 v2, s0, s10, v2
	s_wait_alu 0xf1ff
	v_add_co_ci_u32_e64 v3, s0, s11, v3, s0
	s_wait_loadcnt_dscnt 0x8
	v_mul_f64_e32 v[53:54], v[103:104], v[10:11]
	v_mul_f64_e32 v[55:56], v[103:104], v[8:9]
	scratch_load_b128 v[103:106], off, off offset:128 th:TH_LOAD_LU ; 16-byte Folded Reload
	v_fma_f64 v[53:54], v[101:102], v[8:9], v[53:54]
	v_fma_f64 v[55:56], v[101:102], v[10:11], -v[55:56]
	s_wait_alu 0xfffe
	v_mul_f64_e32 v[8:9], s[6:7], v[0:1]
	v_add_co_u32 v0, s0, v2, v49
	v_mul_f64_e32 v[10:11], s[6:7], v[65:66]
	s_wait_alu 0xf1ff
	v_add_co_ci_u32_e64 v1, s0, v3, v50, s0
	s_wait_loadcnt_dscnt 0x7
	v_mul_f64_e32 v[57:58], v[105:106], v[14:15]
	v_mul_f64_e32 v[59:60], v[105:106], v[12:13]
	scratch_load_b128 v[105:108], off, off offset:160 th:TH_LOAD_LU ; 16-byte Folded Reload
	ds_load_b128 v[4:7], v20 offset:3696
	ds_load_b128 v[45:48], v20 offset:4032
	scratch_load_b128 v[121:124], off, off offset:280 th:TH_LOAD_LU ; 16-byte Folded Reload
	v_fma_f64 v[57:58], v[103:104], v[12:13], v[57:58]
	v_fma_f64 v[59:60], v[103:104], v[14:15], -v[59:60]
	v_mul_f64_e32 v[12:13], s[6:7], v[67:68]
	v_mul_f64_e32 v[14:15], s[6:7], v[69:70]
	v_add_co_u32 v67, s0, v0, s2
	s_wait_alu 0xf1ff
	v_add_co_ci_u32_e64 v68, s0, s3, v1, s0
	s_wait_loadcnt_dscnt 0x108
	v_mul_f64_e32 v[61:62], v[107:108], v[18:19]
	v_mul_f64_e32 v[63:64], v[107:108], v[16:17]
	scratch_load_b128 v[107:110], off, off offset:176 th:TH_LOAD_LU ; 16-byte Folded Reload
	s_wait_loadcnt_dscnt 0x102
	v_mul_f64_e32 v[89:90], v[123:124], v[43:44]
	v_mul_f64_e32 v[91:92], v[123:124], v[41:42]
	scratch_load_b128 v[123:126], off, off offset:296 th:TH_LOAD_LU ; 16-byte Folded Reload
	v_fma_f64 v[61:62], v[105:106], v[16:17], v[61:62]
	v_fma_f64 v[63:64], v[105:106], v[18:19], -v[63:64]
	v_mul_f64_e32 v[16:17], s[6:7], v[57:58]
	v_mul_f64_e32 v[18:19], s[6:7], v[59:60]
	v_fma_f64 v[41:42], v[121:122], v[41:42], v[89:90]
	v_fma_f64 v[43:44], v[121:122], v[43:44], -v[91:92]
	s_wait_loadcnt 0x1
	v_mul_f64_e32 v[71:72], v[109:110], v[23:24]
	v_mul_f64_e32 v[73:74], v[109:110], v[21:22]
	scratch_load_b128 v[109:112], off, off offset:200 th:TH_LOAD_LU ; 16-byte Folded Reload
	s_wait_loadcnt_dscnt 0x100
	v_mul_f64_e32 v[97:98], v[125:126], v[47:48]
	v_mul_f64_e32 v[99:100], v[125:126], v[45:46]
	v_fma_f64 v[49:50], v[107:108], v[21:22], v[71:72]
	v_fma_f64 v[65:66], v[107:108], v[23:24], -v[73:74]
	v_add_co_u32 v71, s0, v67, s2
	s_wait_alu 0xf1ff
	v_add_co_ci_u32_e64 v72, s0, s3, v68, s0
	v_mul_f64_e32 v[21:22], s[6:7], v[61:62]
	v_mul_f64_e32 v[23:24], s[6:7], v[63:64]
	v_fma_f64 v[45:46], v[123:124], v[45:46], v[97:98]
	v_fma_f64 v[47:48], v[123:124], v[47:48], -v[99:100]
	s_delay_alu instid0(VALU_DEP_2) | instskip(NEXT) | instid1(VALU_DEP_2)
	v_mul_f64_e32 v[45:46], s[6:7], v[45:46]
	v_mul_f64_e32 v[47:48], s[6:7], v[47:48]
	s_wait_loadcnt 0x0
	v_mul_f64_e32 v[75:76], v[111:112], v[27:28]
	v_mul_f64_e32 v[77:78], v[111:112], v[25:26]
	scratch_load_b128 v[111:114], off, off offset:216 th:TH_LOAD_LU ; 16-byte Folded Reload
	v_fma_f64 v[25:26], v[109:110], v[25:26], v[75:76]
	v_fma_f64 v[27:28], v[109:110], v[27:28], -v[77:78]
	s_wait_loadcnt 0x0
	v_mul_f64_e32 v[51:52], v[113:114], v[31:32]
	v_mul_f64_e32 v[79:80], v[113:114], v[29:30]
	scratch_load_b128 v[113:116], off, off offset:232 th:TH_LOAD_LU ; 16-byte Folded Reload
	v_fma_f64 v[29:30], v[111:112], v[29:30], v[51:52]
	v_fma_f64 v[31:32], v[111:112], v[31:32], -v[79:80]
	s_wait_loadcnt 0x0
	v_mul_f64_e32 v[81:82], v[115:116], v[35:36]
	v_mul_f64_e32 v[83:84], v[115:116], v[33:34]
	scratch_load_b128 v[115:118], off, off offset:248 th:TH_LOAD_LU ; 16-byte Folded Reload
	v_fma_f64 v[33:34], v[113:114], v[33:34], v[81:82]
	v_fma_f64 v[35:36], v[113:114], v[35:36], -v[83:84]
	s_wait_loadcnt 0x0
	v_mul_f64_e32 v[85:86], v[117:118], v[39:40]
	v_mul_f64_e32 v[87:88], v[117:118], v[37:38]
	scratch_load_b128 v[117:120], off, off offset:264 th:TH_LOAD_LU ; 16-byte Folded Reload
	s_clause 0x1
	global_store_b128 v[0:1], v[8:11], off
	global_store_b128 v[67:68], v[12:15], off
	v_mul_f64_e32 v[8:9], s[6:7], v[49:50]
	v_mul_f64_e32 v[10:11], s[6:7], v[65:66]
	;; [unrolled: 1-line block ×8, first 2 shown]
	v_fma_f64 v[37:38], v[115:116], v[37:38], v[85:86]
	v_fma_f64 v[39:40], v[115:116], v[39:40], -v[87:88]
	s_delay_alu instid0(VALU_DEP_2) | instskip(NEXT) | instid1(VALU_DEP_2)
	v_mul_f64_e32 v[33:34], s[6:7], v[37:38]
	v_mul_f64_e32 v[35:36], s[6:7], v[39:40]
	;; [unrolled: 1-line block ×4, first 2 shown]
	s_wait_loadcnt 0x0
	v_mul_f64_e32 v[93:94], v[119:120], v[6:7]
	v_mul_f64_e32 v[95:96], v[119:120], v[4:5]
	s_delay_alu instid0(VALU_DEP_2) | instskip(NEXT) | instid1(VALU_DEP_2)
	v_fma_f64 v[51:52], v[117:118], v[4:5], v[93:94]
	v_fma_f64 v[69:70], v[117:118], v[6:7], -v[95:96]
	v_mul_f64_e32 v[4:5], s[6:7], v[53:54]
	v_mul_f64_e32 v[6:7], s[6:7], v[55:56]
	v_add_co_u32 v53, s0, v71, s2
	s_wait_alu 0xf1ff
	v_add_co_ci_u32_e64 v54, s0, s3, v72, s0
	s_delay_alu instid0(VALU_DEP_2) | instskip(SKIP_1) | instid1(VALU_DEP_2)
	v_add_co_u32 v0, s0, v53, s2
	s_wait_alu 0xf1ff
	v_add_co_ci_u32_e64 v1, s0, s3, v54, s0
	s_delay_alu instid0(VALU_DEP_2) | instskip(SKIP_1) | instid1(VALU_DEP_2)
	v_add_co_u32 v49, s0, v0, s2
	s_wait_alu 0xf1ff
	v_add_co_ci_u32_e64 v50, s0, s3, v1, s0
	v_mul_f64_e32 v[41:42], s[6:7], v[51:52]
	s_delay_alu instid0(VALU_DEP_3)
	v_add_co_u32 v51, s0, v49, s2
	v_mul_f64_e32 v[43:44], s[6:7], v[69:70]
	s_wait_alu 0xf1ff
	v_add_co_ci_u32_e64 v52, s0, s3, v50, s0
	global_store_b128 v[71:72], v[4:7], off
	v_add_co_u32 v4, s0, v51, s2
	s_wait_alu 0xf1ff
	v_add_co_ci_u32_e64 v5, s0, s3, v52, s0
	global_store_b128 v[53:54], v[16:19], off
	v_add_co_u32 v6, s0, v4, s2
	;; [unrolled: 4-line block ×6, first 2 shown]
	s_wait_alu 0xf1ff
	v_add_co_ci_u32_e64 v1, s0, s3, v11, s0
	global_store_b128 v[6:7], v[29:32], off
	global_store_b128 v[16:17], v[33:36], off
	global_store_b128 v[8:9], v[37:40], off
	global_store_b128 v[10:11], v[41:44], off
	global_store_b128 v[0:1], v[45:48], off
	s_and_b32 exec_lo, exec_lo, vcc_lo
	s_cbranch_execz .LBB0_15
; %bb.14:
	scratch_load_b64 v[18:19], off, off offset:4 th:TH_LOAD_LU ; 8-byte Folded Reload
	v_mad_co_u64_u32 v[0:1], null, 0xfffff110, s4, v[0:1]
	s_mul_i32 s0, s5, 0xfffff110
	s_wait_alu 0xfffe
	s_sub_co_i32 s0, s0, s4
	s_wait_alu 0xfffe
	s_delay_alu instid0(VALU_DEP_1)
	v_add_nc_u32_e32 v1, s0, v1
	s_wait_loadcnt 0x0
	global_load_b128 v[4:7], v[18:19], off offset:208
	ds_load_b128 v[8:11], v20 offset:208
	ds_load_b128 v[12:15], v20 offset:544
	s_wait_loadcnt_dscnt 0x1
	v_mul_f64_e32 v[16:17], v[10:11], v[6:7]
	v_mul_f64_e32 v[6:7], v[8:9], v[6:7]
	s_delay_alu instid0(VALU_DEP_2) | instskip(NEXT) | instid1(VALU_DEP_2)
	v_fma_f64 v[8:9], v[8:9], v[4:5], v[16:17]
	v_fma_f64 v[6:7], v[4:5], v[10:11], -v[6:7]
	s_delay_alu instid0(VALU_DEP_2) | instskip(NEXT) | instid1(VALU_DEP_2)
	v_mul_f64_e32 v[4:5], s[6:7], v[8:9]
	v_mul_f64_e32 v[6:7], s[6:7], v[6:7]
	global_store_b128 v[0:1], v[4:7], off
	global_load_b128 v[4:7], v[18:19], off offset:544
	v_add_co_u32 v0, vcc_lo, v0, s2
	s_wait_alu 0xfffd
	v_add_co_ci_u32_e32 v1, vcc_lo, s3, v1, vcc_lo
	s_wait_loadcnt_dscnt 0x0
	v_mul_f64_e32 v[8:9], v[14:15], v[6:7]
	v_mul_f64_e32 v[6:7], v[12:13], v[6:7]
	s_delay_alu instid0(VALU_DEP_2) | instskip(NEXT) | instid1(VALU_DEP_2)
	v_fma_f64 v[8:9], v[12:13], v[4:5], v[8:9]
	v_fma_f64 v[6:7], v[4:5], v[14:15], -v[6:7]
	s_delay_alu instid0(VALU_DEP_2) | instskip(NEXT) | instid1(VALU_DEP_2)
	v_mul_f64_e32 v[4:5], s[6:7], v[8:9]
	v_mul_f64_e32 v[6:7], s[6:7], v[6:7]
	global_store_b128 v[0:1], v[4:7], off
	global_load_b128 v[4:7], v[18:19], off offset:880
	ds_load_b128 v[8:11], v20 offset:880
	ds_load_b128 v[12:15], v20 offset:1216
	v_add_co_u32 v0, vcc_lo, v0, s2
	s_wait_alu 0xfffd
	v_add_co_ci_u32_e32 v1, vcc_lo, s3, v1, vcc_lo
	s_wait_loadcnt_dscnt 0x1
	v_mul_f64_e32 v[16:17], v[10:11], v[6:7]
	v_mul_f64_e32 v[6:7], v[8:9], v[6:7]
	s_delay_alu instid0(VALU_DEP_2) | instskip(NEXT) | instid1(VALU_DEP_2)
	v_fma_f64 v[8:9], v[8:9], v[4:5], v[16:17]
	v_fma_f64 v[6:7], v[4:5], v[10:11], -v[6:7]
	s_delay_alu instid0(VALU_DEP_2) | instskip(NEXT) | instid1(VALU_DEP_2)
	v_mul_f64_e32 v[4:5], s[6:7], v[8:9]
	v_mul_f64_e32 v[6:7], s[6:7], v[6:7]
	global_store_b128 v[0:1], v[4:7], off
	global_load_b128 v[4:7], v[18:19], off offset:1216
	v_add_co_u32 v0, vcc_lo, v0, s2
	s_wait_alu 0xfffd
	v_add_co_ci_u32_e32 v1, vcc_lo, s3, v1, vcc_lo
	s_wait_loadcnt_dscnt 0x0
	v_mul_f64_e32 v[8:9], v[14:15], v[6:7]
	v_mul_f64_e32 v[6:7], v[12:13], v[6:7]
	s_delay_alu instid0(VALU_DEP_2) | instskip(NEXT) | instid1(VALU_DEP_2)
	v_fma_f64 v[8:9], v[12:13], v[4:5], v[8:9]
	v_fma_f64 v[6:7], v[4:5], v[14:15], -v[6:7]
	s_delay_alu instid0(VALU_DEP_2) | instskip(NEXT) | instid1(VALU_DEP_2)
	v_mul_f64_e32 v[4:5], s[6:7], v[8:9]
	v_mul_f64_e32 v[6:7], s[6:7], v[6:7]
	global_store_b128 v[0:1], v[4:7], off
	global_load_b128 v[4:7], v[18:19], off offset:1552
	ds_load_b128 v[8:11], v20 offset:1552
	ds_load_b128 v[12:15], v20 offset:1888
	v_add_co_u32 v0, vcc_lo, v0, s2
	s_wait_alu 0xfffd
	v_add_co_ci_u32_e32 v1, vcc_lo, s3, v1, vcc_lo
	s_wait_loadcnt_dscnt 0x1
	v_mul_f64_e32 v[16:17], v[10:11], v[6:7]
	v_mul_f64_e32 v[6:7], v[8:9], v[6:7]
	s_delay_alu instid0(VALU_DEP_2) | instskip(NEXT) | instid1(VALU_DEP_2)
	v_fma_f64 v[8:9], v[8:9], v[4:5], v[16:17]
	v_fma_f64 v[6:7], v[4:5], v[10:11], -v[6:7]
	s_delay_alu instid0(VALU_DEP_2) | instskip(NEXT) | instid1(VALU_DEP_2)
	v_mul_f64_e32 v[4:5], s[6:7], v[8:9]
	v_mul_f64_e32 v[6:7], s[6:7], v[6:7]
	global_store_b128 v[0:1], v[4:7], off
	global_load_b128 v[4:7], v[18:19], off offset:1888
	v_add_co_u32 v0, vcc_lo, v0, s2
	s_wait_alu 0xfffd
	v_add_co_ci_u32_e32 v1, vcc_lo, s3, v1, vcc_lo
	s_wait_loadcnt_dscnt 0x0
	v_mul_f64_e32 v[8:9], v[14:15], v[6:7]
	v_mul_f64_e32 v[6:7], v[12:13], v[6:7]
	s_delay_alu instid0(VALU_DEP_2) | instskip(NEXT) | instid1(VALU_DEP_2)
	v_fma_f64 v[8:9], v[12:13], v[4:5], v[8:9]
	v_fma_f64 v[6:7], v[4:5], v[14:15], -v[6:7]
	s_delay_alu instid0(VALU_DEP_2) | instskip(NEXT) | instid1(VALU_DEP_2)
	v_mul_f64_e32 v[4:5], s[6:7], v[8:9]
	v_mul_f64_e32 v[6:7], s[6:7], v[6:7]
	global_store_b128 v[0:1], v[4:7], off
	global_load_b128 v[4:7], v[18:19], off offset:2224
	ds_load_b128 v[8:11], v20 offset:2224
	ds_load_b128 v[12:15], v20 offset:2560
	s_wait_loadcnt_dscnt 0x1
	v_mul_f64_e32 v[16:17], v[10:11], v[6:7]
	v_mul_f64_e32 v[6:7], v[8:9], v[6:7]
	s_delay_alu instid0(VALU_DEP_2) | instskip(NEXT) | instid1(VALU_DEP_2)
	v_fma_f64 v[8:9], v[8:9], v[4:5], v[16:17]
	v_fma_f64 v[6:7], v[4:5], v[10:11], -v[6:7]
	v_add_co_u32 v16, vcc_lo, v0, s2
	s_wait_alu 0xfffd
	v_add_co_ci_u32_e32 v17, vcc_lo, s3, v1, vcc_lo
	scratch_load_b32 v10, off, off offset:500 th:TH_LOAD_LU ; 4-byte Folded Reload
	v_mul_f64_e32 v[4:5], s[6:7], v[8:9]
	v_mul_f64_e32 v[6:7], s[6:7], v[6:7]
	global_store_b128 v[16:17], v[4:7], off
	global_load_b128 v[4:7], v[18:19], off offset:2560
	s_wait_loadcnt 0x1
	v_mad_co_u64_u32 v[8:9], null, s4, v10, 0
	s_wait_loadcnt_dscnt 0x0
	v_mul_f64_e32 v[0:1], v[14:15], v[6:7]
	v_mul_f64_e32 v[6:7], v[12:13], v[6:7]
	s_delay_alu instid0(VALU_DEP_2) | instskip(NEXT) | instid1(VALU_DEP_2)
	v_fma_f64 v[0:1], v[12:13], v[4:5], v[0:1]
	v_fma_f64 v[6:7], v[4:5], v[14:15], -v[6:7]
	s_delay_alu instid0(VALU_DEP_2) | instskip(SKIP_1) | instid1(VALU_DEP_3)
	v_mul_f64_e32 v[4:5], s[6:7], v[0:1]
	v_mov_b32_e32 v0, v9
	v_mul_f64_e32 v[6:7], s[6:7], v[6:7]
	s_delay_alu instid0(VALU_DEP_2) | instskip(NEXT) | instid1(VALU_DEP_1)
	v_mad_co_u64_u32 v[0:1], null, s5, v10, v[0:1]
	v_mov_b32_e32 v9, v0
	s_delay_alu instid0(VALU_DEP_1) | instskip(NEXT) | instid1(VALU_DEP_1)
	v_lshlrev_b64_e32 v[0:1], 4, v[8:9]
	v_add_co_u32 v0, vcc_lo, v2, v0
	s_wait_alu 0xfffd
	s_delay_alu instid0(VALU_DEP_2)
	v_add_co_ci_u32_e32 v1, vcc_lo, v3, v1, vcc_lo
	global_store_b128 v[0:1], v[4:7], off
	global_load_b128 v[0:3], v[18:19], off offset:2896
	ds_load_b128 v[4:7], v20 offset:2896
	ds_load_b128 v[8:11], v20 offset:3232
	s_wait_loadcnt_dscnt 0x1
	v_mul_f64_e32 v[12:13], v[6:7], v[2:3]
	v_mul_f64_e32 v[2:3], v[4:5], v[2:3]
	s_delay_alu instid0(VALU_DEP_2) | instskip(NEXT) | instid1(VALU_DEP_2)
	v_fma_f64 v[4:5], v[4:5], v[0:1], v[12:13]
	v_fma_f64 v[2:3], v[0:1], v[6:7], -v[2:3]
	s_delay_alu instid0(VALU_DEP_2) | instskip(NEXT) | instid1(VALU_DEP_2)
	v_mul_f64_e32 v[0:1], s[6:7], v[4:5]
	v_mul_f64_e32 v[2:3], s[6:7], v[2:3]
	v_mad_co_u64_u32 v[4:5], null, 0x2a0, s4, v[16:17]
	s_delay_alu instid0(VALU_DEP_1) | instskip(NEXT) | instid1(VALU_DEP_2)
	v_mad_co_u64_u32 v[5:6], null, 0x2a0, s5, v[5:6]
	v_add_co_u32 v12, vcc_lo, v4, s2
	s_wait_alu 0xfffd
	s_delay_alu instid0(VALU_DEP_2)
	v_add_co_ci_u32_e32 v13, vcc_lo, s3, v5, vcc_lo
	global_store_b128 v[4:5], v[0:3], off
	global_load_b128 v[0:3], v[18:19], off offset:3232
	s_wait_loadcnt_dscnt 0x0
	v_mul_f64_e32 v[6:7], v[10:11], v[2:3]
	v_mul_f64_e32 v[2:3], v[8:9], v[2:3]
	s_delay_alu instid0(VALU_DEP_2) | instskip(NEXT) | instid1(VALU_DEP_2)
	v_fma_f64 v[6:7], v[8:9], v[0:1], v[6:7]
	v_fma_f64 v[2:3], v[0:1], v[10:11], -v[2:3]
	s_delay_alu instid0(VALU_DEP_2) | instskip(NEXT) | instid1(VALU_DEP_2)
	v_mul_f64_e32 v[0:1], s[6:7], v[6:7]
	v_mul_f64_e32 v[2:3], s[6:7], v[2:3]
	global_store_b128 v[12:13], v[0:3], off
	global_load_b128 v[0:3], v[18:19], off offset:3568
	ds_load_b128 v[4:7], v20 offset:3568
	ds_load_b128 v[8:11], v20 offset:3904
	s_wait_loadcnt_dscnt 0x1
	v_mul_f64_e32 v[14:15], v[6:7], v[2:3]
	v_mul_f64_e32 v[2:3], v[4:5], v[2:3]
	s_delay_alu instid0(VALU_DEP_2) | instskip(NEXT) | instid1(VALU_DEP_2)
	v_fma_f64 v[4:5], v[4:5], v[0:1], v[14:15]
	v_fma_f64 v[2:3], v[0:1], v[6:7], -v[2:3]
	s_delay_alu instid0(VALU_DEP_2) | instskip(NEXT) | instid1(VALU_DEP_2)
	v_mul_f64_e32 v[0:1], s[6:7], v[4:5]
	v_mul_f64_e32 v[2:3], s[6:7], v[2:3]
	v_add_co_u32 v4, vcc_lo, v12, s2
	s_wait_alu 0xfffd
	v_add_co_ci_u32_e32 v5, vcc_lo, s3, v13, vcc_lo
	global_store_b128 v[4:5], v[0:3], off
	global_load_b128 v[0:3], v[18:19], off offset:3904
	s_wait_loadcnt_dscnt 0x0
	v_mul_f64_e32 v[6:7], v[10:11], v[2:3]
	v_mul_f64_e32 v[2:3], v[8:9], v[2:3]
	s_delay_alu instid0(VALU_DEP_2) | instskip(NEXT) | instid1(VALU_DEP_2)
	v_fma_f64 v[6:7], v[8:9], v[0:1], v[6:7]
	v_fma_f64 v[2:3], v[0:1], v[10:11], -v[2:3]
	v_add_co_u32 v8, vcc_lo, v4, s2
	s_wait_alu 0xfffd
	v_add_co_ci_u32_e32 v9, vcc_lo, s3, v5, vcc_lo
	s_delay_alu instid0(VALU_DEP_4) | instskip(NEXT) | instid1(VALU_DEP_4)
	v_mul_f64_e32 v[0:1], s[6:7], v[6:7]
	v_mul_f64_e32 v[2:3], s[6:7], v[2:3]
	ds_load_b128 v[4:7], v20 offset:4240
	global_store_b128 v[8:9], v[0:3], off
	global_load_b128 v[0:3], v[18:19], off offset:4240
	s_wait_loadcnt_dscnt 0x0
	v_mul_f64_e32 v[10:11], v[6:7], v[2:3]
	v_mul_f64_e32 v[2:3], v[4:5], v[2:3]
	s_delay_alu instid0(VALU_DEP_2) | instskip(NEXT) | instid1(VALU_DEP_2)
	v_fma_f64 v[4:5], v[4:5], v[0:1], v[10:11]
	v_fma_f64 v[2:3], v[0:1], v[6:7], -v[2:3]
	s_delay_alu instid0(VALU_DEP_2) | instskip(NEXT) | instid1(VALU_DEP_2)
	v_mul_f64_e32 v[0:1], s[6:7], v[4:5]
	v_mul_f64_e32 v[2:3], s[6:7], v[2:3]
	v_add_co_u32 v4, vcc_lo, v8, s2
	s_wait_alu 0xfffd
	v_add_co_ci_u32_e32 v5, vcc_lo, s3, v9, vcc_lo
	global_store_b128 v[4:5], v[0:3], off
.LBB0_15:
	s_nop 0
	s_sendmsg sendmsg(MSG_DEALLOC_VGPRS)
	s_endpgm
	.section	.rodata,"a",@progbits
	.p2align	6, 0x0
	.amdhsa_kernel bluestein_single_back_len273_dim1_dp_op_CI_CI
		.amdhsa_group_segment_fixed_size 17472
		.amdhsa_private_segment_fixed_size 508
		.amdhsa_kernarg_size 104
		.amdhsa_user_sgpr_count 2
		.amdhsa_user_sgpr_dispatch_ptr 0
		.amdhsa_user_sgpr_queue_ptr 0
		.amdhsa_user_sgpr_kernarg_segment_ptr 1
		.amdhsa_user_sgpr_dispatch_id 0
		.amdhsa_user_sgpr_private_segment_size 0
		.amdhsa_wavefront_size32 1
		.amdhsa_uses_dynamic_stack 0
		.amdhsa_enable_private_segment 1
		.amdhsa_system_sgpr_workgroup_id_x 1
		.amdhsa_system_sgpr_workgroup_id_y 0
		.amdhsa_system_sgpr_workgroup_id_z 0
		.amdhsa_system_sgpr_workgroup_info 0
		.amdhsa_system_vgpr_workitem_id 0
		.amdhsa_next_free_vgpr 256
		.amdhsa_next_free_sgpr 48
		.amdhsa_reserve_vcc 1
		.amdhsa_float_round_mode_32 0
		.amdhsa_float_round_mode_16_64 0
		.amdhsa_float_denorm_mode_32 3
		.amdhsa_float_denorm_mode_16_64 3
		.amdhsa_fp16_overflow 0
		.amdhsa_workgroup_processor_mode 1
		.amdhsa_memory_ordered 1
		.amdhsa_forward_progress 0
		.amdhsa_round_robin_scheduling 0
		.amdhsa_exception_fp_ieee_invalid_op 0
		.amdhsa_exception_fp_denorm_src 0
		.amdhsa_exception_fp_ieee_div_zero 0
		.amdhsa_exception_fp_ieee_overflow 0
		.amdhsa_exception_fp_ieee_underflow 0
		.amdhsa_exception_fp_ieee_inexact 0
		.amdhsa_exception_int_div_zero 0
	.end_amdhsa_kernel
	.text
.Lfunc_end0:
	.size	bluestein_single_back_len273_dim1_dp_op_CI_CI, .Lfunc_end0-bluestein_single_back_len273_dim1_dp_op_CI_CI
                                        ; -- End function
	.section	.AMDGPU.csdata,"",@progbits
; Kernel info:
; codeLenInByte = 29564
; NumSgprs: 50
; NumVgprs: 256
; ScratchSize: 508
; MemoryBound: 0
; FloatMode: 240
; IeeeMode: 1
; LDSByteSize: 17472 bytes/workgroup (compile time only)
; SGPRBlocks: 6
; VGPRBlocks: 31
; NumSGPRsForWavesPerEU: 50
; NumVGPRsForWavesPerEU: 256
; Occupancy: 4
; WaveLimiterHint : 1
; COMPUTE_PGM_RSRC2:SCRATCH_EN: 1
; COMPUTE_PGM_RSRC2:USER_SGPR: 2
; COMPUTE_PGM_RSRC2:TRAP_HANDLER: 0
; COMPUTE_PGM_RSRC2:TGID_X_EN: 1
; COMPUTE_PGM_RSRC2:TGID_Y_EN: 0
; COMPUTE_PGM_RSRC2:TGID_Z_EN: 0
; COMPUTE_PGM_RSRC2:TIDIG_COMP_CNT: 0
	.text
	.p2alignl 7, 3214868480
	.fill 96, 4, 3214868480
	.type	__hip_cuid_3adc33f0560f04af,@object ; @__hip_cuid_3adc33f0560f04af
	.section	.bss,"aw",@nobits
	.globl	__hip_cuid_3adc33f0560f04af
__hip_cuid_3adc33f0560f04af:
	.byte	0                               ; 0x0
	.size	__hip_cuid_3adc33f0560f04af, 1

	.ident	"AMD clang version 19.0.0git (https://github.com/RadeonOpenCompute/llvm-project roc-6.4.0 25133 c7fe45cf4b819c5991fe208aaa96edf142730f1d)"
	.section	".note.GNU-stack","",@progbits
	.addrsig
	.addrsig_sym __hip_cuid_3adc33f0560f04af
	.amdgpu_metadata
---
amdhsa.kernels:
  - .args:
      - .actual_access:  read_only
        .address_space:  global
        .offset:         0
        .size:           8
        .value_kind:     global_buffer
      - .actual_access:  read_only
        .address_space:  global
        .offset:         8
        .size:           8
        .value_kind:     global_buffer
      - .actual_access:  read_only
        .address_space:  global
        .offset:         16
        .size:           8
        .value_kind:     global_buffer
      - .actual_access:  read_only
        .address_space:  global
        .offset:         24
        .size:           8
        .value_kind:     global_buffer
      - .actual_access:  read_only
        .address_space:  global
        .offset:         32
        .size:           8
        .value_kind:     global_buffer
      - .offset:         40
        .size:           8
        .value_kind:     by_value
      - .address_space:  global
        .offset:         48
        .size:           8
        .value_kind:     global_buffer
      - .address_space:  global
        .offset:         56
        .size:           8
        .value_kind:     global_buffer
      - .address_space:  global
        .offset:         64
        .size:           8
        .value_kind:     global_buffer
      - .address_space:  global
        .offset:         72
        .size:           8
        .value_kind:     global_buffer
      - .offset:         80
        .size:           4
        .value_kind:     by_value
      - .address_space:  global
        .offset:         88
        .size:           8
        .value_kind:     global_buffer
      - .address_space:  global
        .offset:         96
        .size:           8
        .value_kind:     global_buffer
    .group_segment_fixed_size: 17472
    .kernarg_segment_align: 8
    .kernarg_segment_size: 104
    .language:       OpenCL C
    .language_version:
      - 2
      - 0
    .max_flat_workgroup_size: 52
    .name:           bluestein_single_back_len273_dim1_dp_op_CI_CI
    .private_segment_fixed_size: 508
    .sgpr_count:     50
    .sgpr_spill_count: 0
    .symbol:         bluestein_single_back_len273_dim1_dp_op_CI_CI.kd
    .uniform_work_group_size: 1
    .uses_dynamic_stack: false
    .vgpr_count:     256
    .vgpr_spill_count: 168
    .wavefront_size: 32
    .workgroup_processor_mode: 1
amdhsa.target:   amdgcn-amd-amdhsa--gfx1201
amdhsa.version:
  - 1
  - 2
...

	.end_amdgpu_metadata
